;; amdgpu-corpus repo=ROCm/rocFFT kind=compiled arch=gfx1030 opt=O3
	.text
	.amdgcn_target "amdgcn-amd-amdhsa--gfx1030"
	.amdhsa_code_object_version 6
	.protected	bluestein_single_fwd_len34_dim1_dp_op_CI_CI ; -- Begin function bluestein_single_fwd_len34_dim1_dp_op_CI_CI
	.globl	bluestein_single_fwd_len34_dim1_dp_op_CI_CI
	.p2align	8
	.type	bluestein_single_fwd_len34_dim1_dp_op_CI_CI,@function
bluestein_single_fwd_len34_dim1_dp_op_CI_CI: ; @bluestein_single_fwd_len34_dim1_dp_op_CI_CI
; %bb.0:
	s_mov_b64 s[62:63], s[2:3]
	s_mov_b64 s[60:61], s[0:1]
	s_load_dwordx4 s[0:3], s[4:5], 0x28
	v_mul_u32_u24_e32 v1, 0xf10, v0
	s_add_u32 s60, s60, s7
	s_addc_u32 s61, s61, 0
	v_lshrrev_b32_e32 v1, 16, v1
	v_mad_u64_u32 v[128:129], null, s6, 15, v[1:2]
	v_mov_b32_e32 v129, 0
	s_waitcnt lgkmcnt(0)
	v_cmp_gt_u64_e32 vcc_lo, s[0:1], v[128:129]
	s_and_saveexec_b32 s0, vcc_lo
	s_cbranch_execz .LBB0_15
; %bb.1:
	v_mul_hi_u32 v2, 0x88888889, v128
	v_mul_lo_u16 v1, v1, 17
	s_clause 0x1
	s_load_dwordx2 s[6:7], s[4:5], 0x0
	s_load_dwordx2 s[12:13], s[4:5], 0x38
	v_sub_nc_u16 v0, v0, v1
	v_lshrrev_b32_e32 v2, 3, v2
	v_and_b32_e32 v255, 0xffff, v0
	v_cmp_gt_u16_e32 vcc_lo, 2, v0
	v_mul_lo_u32 v1, v2, 15
	v_lshlrev_b32_e32 v211, 4, v255
	v_or_b32_e32 v197, 2, v255
	v_or_b32_e32 v214, 4, v255
	;; [unrolled: 1-line block ×4, first 2 shown]
	v_sub_nc_u32_e32 v0, v128, v1
	v_or_b32_e32 v209, 10, v255
	v_or_b32_e32 v208, 12, v255
	;; [unrolled: 1-line block ×4, first 2 shown]
	v_mul_u32_u24_e32 v198, 34, v0
	v_or_b32_e32 v205, 18, v255
	v_or_b32_e32 v204, 20, v255
	;; [unrolled: 1-line block ×6, first 2 shown]
	v_lshlrev_b32_e32 v212, 4, v0
	s_and_saveexec_b32 s1, vcc_lo
	s_cbranch_execz .LBB0_3
; %bb.2:
	s_load_dwordx2 s[8:9], s[4:5], 0x18
	v_or_b32_e32 v104, 28, v255
	v_or_b32_e32 v108, 30, v255
	;; [unrolled: 1-line block ×3, first 2 shown]
	s_waitcnt lgkmcnt(0)
	s_load_dwordx4 s[8:11], s[8:9], 0x0
	s_clause 0x3
	global_load_dwordx4 v[0:3], v211, s[6:7]
	global_load_dwordx4 v[4:7], v211, s[6:7] offset:32
	global_load_dwordx4 v[8:11], v211, s[6:7] offset:64
	;; [unrolled: 1-line block ×3, first 2 shown]
	s_waitcnt lgkmcnt(0)
	v_mad_u64_u32 v[16:17], null, s10, v128, 0
	v_mad_u64_u32 v[18:19], null, s8, v255, 0
	;; [unrolled: 1-line block ×8, first 2 shown]
	v_mov_b32_e32 v28, v33
	v_mad_u64_u32 v[33:34], null, s9, v255, v[19:20]
	v_mad_u64_u32 v[26:27], null, s8, v210, 0
	;; [unrolled: 1-line block ×3, first 2 shown]
	v_mov_b32_e32 v17, v30
	v_mad_u64_u32 v[35:36], null, s9, v214, v[23:24]
	v_mov_b32_e32 v29, v43
	v_mov_b32_e32 v19, v33
	v_lshlrev_b64 v[16:17], 4, v[16:17]
	v_mad_u64_u32 v[36:37], null, s9, v213, v[25:26]
	v_mad_u64_u32 v[37:38], null, s9, v210, v[27:28]
	v_mov_b32_e32 v21, v34
	v_mad_u64_u32 v[38:39], null, s9, v209, v[28:29]
	v_mad_u64_u32 v[39:40], null, s9, v208, v[29:30]
	v_lshlrev_b64 v[18:19], 4, v[18:19]
	v_mov_b32_e32 v23, v35
	v_add_co_u32 v40, s0, s2, v16
	v_lshlrev_b64 v[20:21], 4, v[20:21]
	v_add_co_ci_u32_e64 v41, s0, s3, v17, s0
	v_mov_b32_e32 v25, v36
	v_lshlrev_b64 v[22:23], 4, v[22:23]
	v_add_co_u32 v18, s0, v40, v18
	v_mad_u64_u32 v[50:51], null, s8, v207, 0
	v_mov_b32_e32 v27, v37
	v_add_co_ci_u32_e64 v19, s0, v41, v19, s0
	v_lshlrev_b64 v[16:17], 4, v[24:25]
	v_add_co_u32 v20, s0, v40, v20
	v_mov_b32_e32 v33, v38
	v_add_co_ci_u32_e64 v21, s0, v41, v21, s0
	v_add_co_u32 v22, s0, v40, v22
	v_lshlrev_b64 v[34:35], 4, v[26:27]
	v_mov_b32_e32 v43, v39
	v_add_co_ci_u32_e64 v23, s0, v41, v23, s0
	v_add_co_u32 v16, s0, v40, v16
	v_lshlrev_b64 v[32:33], 4, v[32:33]
	;; [unrolled: 4-line block ×3, first 2 shown]
	v_mad_u64_u32 v[66:67], null, s8, v206, 0
	v_mad_u64_u32 v[68:69], null, s8, v205, 0
	v_mad_u64_u32 v[82:83], null, s8, v204, 0
	v_mad_u64_u32 v[84:85], null, s8, v203, 0
	v_add_co_ci_u32_e64 v45, s0, v41, v35, s0
	v_mad_u64_u32 v[46:47], null, s9, v207, v[36:37]
	v_add_co_u32 v47, s0, v40, v32
	v_add_co_ci_u32_e64 v48, s0, v41, v33, s0
	v_add_co_u32 v58, s0, v40, v52
	v_add_co_ci_u32_e64 v59, s0, v41, v53, s0
	v_mov_b32_e32 v52, v67
	v_mov_b32_e32 v53, v69
	;; [unrolled: 1-line block ×5, first 2 shown]
	v_mad_u64_u32 v[98:99], null, s8, v242, 0
	v_mad_u64_u32 v[60:61], null, s9, v206, v[52:53]
	;; [unrolled: 1-line block ×4, first 2 shown]
	v_lshlrev_b64 v[50:51], 4, v[50:51]
	v_mad_u64_u32 v[100:101], null, s8, v241, 0
	v_mov_b32_e32 v67, v60
	v_mad_u64_u32 v[70:71], null, s9, v203, v[71:72]
	v_mov_b32_e32 v69, v64
	v_mov_b32_e32 v83, v72
	v_lshlrev_b64 v[66:67], 4, v[66:67]
	v_add_co_u32 v62, s0, v40, v50
	v_lshlrev_b64 v[68:69], 4, v[68:69]
	v_mov_b32_e32 v85, v70
	v_add_co_ci_u32_e64 v63, s0, v41, v51, s0
	v_add_co_u32 v66, s0, v40, v66
	v_lshlrev_b64 v[82:83], 4, v[82:83]
	v_add_co_ci_u32_e64 v67, s0, v41, v67, s0
	v_add_co_u32 v73, s0, v40, v68
	v_lshlrev_b64 v[84:85], 4, v[84:85]
	v_mov_b32_e32 v86, v99
	v_add_co_ci_u32_e64 v74, s0, v41, v69, s0
	v_add_co_u32 v82, s0, v40, v82
	v_mad_u64_u32 v[106:107], null, s8, v104, 0
	v_mad_u64_u32 v[114:115], null, s8, v108, 0
	v_add_co_ci_u32_e64 v83, s0, v41, v83, s0
	v_mad_u64_u32 v[90:91], null, s9, v242, v[86:87]
	v_mov_b32_e32 v86, v101
	v_add_co_u32 v87, s0, v40, v84
	v_mov_b32_e32 v103, v115
	v_mad_u64_u32 v[116:117], null, s8, v110, 0
	v_mad_u64_u32 v[101:102], null, s9, v241, v[86:87]
	v_mov_b32_e32 v102, v107
	v_mov_b32_e32 v99, v90
	v_add_co_ci_u32_e64 v88, s0, v41, v85, s0
	s_clause 0x3
	global_load_dwordx4 v[28:31], v[18:19], off
	global_load_dwordx4 v[24:27], v[20:21], off
	;; [unrolled: 1-line block ×4, first 2 shown]
	v_mad_u64_u32 v[104:105], null, s9, v104, v[102:103]
	v_lshlrev_b64 v[98:99], 4, v[98:99]
	v_lshlrev_b64 v[100:101], 4, v[100:101]
	s_clause 0x1
	global_load_dwordx4 v[36:39], v211, s[6:7] offset:128
	global_load_dwordx4 v[32:35], v211, s[6:7] offset:160
	s_clause 0x1
	global_load_dwordx4 v[42:45], v[44:45], off
	global_load_dwordx4 v[46:49], v[47:48], off
	s_clause 0x1
	global_load_dwordx4 v[50:53], v211, s[6:7] offset:192
	global_load_dwordx4 v[54:57], v211, s[6:7] offset:224
	s_clause 0x1
	global_load_dwordx4 v[58:61], v[58:59], off
	global_load_dwordx4 v[62:65], v[62:63], off
	v_mad_u64_u32 v[102:103], null, s9, v108, v[103:104]
	v_mov_b32_e32 v103, v117
	v_mov_b32_e32 v107, v104
	v_add_co_u32 v98, s0, v40, v98
	v_add_co_ci_u32_e64 v99, s0, v41, v99, s0
	v_mad_u64_u32 v[117:118], null, s9, v110, v[103:104]
	v_mov_b32_e32 v115, v102
	v_lshlrev_b64 v[118:119], 4, v[106:107]
	v_add_co_u32 v108, s0, v40, v100
	v_add_co_ci_u32_e64 v109, s0, v41, v101, s0
	v_lshlrev_b64 v[114:115], 4, v[114:115]
	v_add_co_u32 v118, s0, v40, v118
	v_lshlrev_b64 v[120:121], 4, v[116:117]
	s_clause 0x1
	global_load_dwordx4 v[66:69], v[66:67], off
	global_load_dwordx4 v[70:73], v[73:74], off
	s_clause 0x1
	global_load_dwordx4 v[74:77], v211, s[6:7] offset:256
	global_load_dwordx4 v[78:81], v211, s[6:7] offset:288
	v_add_co_ci_u32_e64 v119, s0, v41, v119, s0
	v_add_co_u32 v122, s0, v40, v114
	s_clause 0x1
	global_load_dwordx4 v[82:85], v[82:83], off
	global_load_dwordx4 v[86:89], v[87:88], off
	s_clause 0x1
	global_load_dwordx4 v[90:93], v211, s[6:7] offset:320
	global_load_dwordx4 v[94:97], v211, s[6:7] offset:352
	v_add_co_ci_u32_e64 v123, s0, v41, v115, s0
	s_clause 0x1
	global_load_dwordx4 v[98:101], v[98:99], off
	global_load_dwordx4 v[102:105], v[108:109], off
	s_clause 0x1
	global_load_dwordx4 v[106:109], v211, s[6:7] offset:384
	global_load_dwordx4 v[110:113], v211, s[6:7] offset:416
	v_add_co_u32 v40, s0, v40, v120
	global_load_dwordx4 v[114:117], v211, s[6:7] offset:448
	v_add_co_ci_u32_e64 v41, s0, v41, v121, s0
	s_clause 0x1
	global_load_dwordx4 v[118:121], v[118:119], off
	global_load_dwordx4 v[122:125], v[122:123], off
	s_clause 0x1
	global_load_dwordx4 v[129:132], v211, s[6:7] offset:480
	global_load_dwordx4 v[133:136], v211, s[6:7] offset:512
	global_load_dwordx4 v[137:140], v[40:41], off
	s_waitcnt vmcnt(29)
	v_mul_f64 v[40:41], v[30:31], v[2:3]
	v_mul_f64 v[2:3], v[28:29], v[2:3]
	s_waitcnt vmcnt(28)
	v_mul_f64 v[126:127], v[26:27], v[6:7]
	v_mul_f64 v[6:7], v[24:25], v[6:7]
	;; [unrolled: 3-line block ×8, first 2 shown]
	v_fma_f64 v[28:29], v[28:29], v[0:1], v[40:41]
	v_fma_f64 v[30:31], v[30:31], v[0:1], -v[2:3]
	v_fma_f64 v[0:1], v[24:25], v[4:5], v[126:127]
	v_fma_f64 v[2:3], v[26:27], v[4:5], -v[6:7]
	;; [unrolled: 2-line block ×4, first 2 shown]
	v_fma_f64 v[12:13], v[42:43], v[36:37], v[145:146]
	s_waitcnt vmcnt(15)
	v_mul_f64 v[153:154], v[68:69], v[76:77]
	v_mul_f64 v[76:77], v[66:67], v[76:77]
	s_waitcnt vmcnt(14)
	v_mul_f64 v[155:156], v[72:73], v[80:81]
	v_mul_f64 v[80:81], v[70:71], v[80:81]
	v_fma_f64 v[14:15], v[44:45], v[36:37], -v[38:39]
	v_fma_f64 v[16:17], v[46:47], v[32:33], v[147:148]
	s_waitcnt vmcnt(11)
	v_mul_f64 v[157:158], v[84:85], v[92:93]
	v_mul_f64 v[92:93], v[82:83], v[92:93]
	s_waitcnt vmcnt(10)
	v_mul_f64 v[159:160], v[88:89], v[96:97]
	v_mul_f64 v[96:97], v[86:87], v[96:97]
	;; [unrolled: 3-line block ×7, first 2 shown]
	v_fma_f64 v[18:19], v[48:49], v[32:33], -v[34:35]
	v_fma_f64 v[20:21], v[58:59], v[50:51], v[149:150]
	v_fma_f64 v[22:23], v[60:61], v[50:51], -v[52:53]
	v_fma_f64 v[24:25], v[62:63], v[54:55], v[151:152]
	;; [unrolled: 2-line block ×11, first 2 shown]
	v_fma_f64 v[66:67], v[139:140], v[133:134], -v[135:136]
	v_lshl_add_u32 v68, v198, 4, v211
	ds_write_b128 v212, v[28:31]
	ds_write_b128 v68, v[0:3] offset:32
	ds_write_b128 v68, v[4:7] offset:64
	;; [unrolled: 1-line block ×16, first 2 shown]
.LBB0_3:
	s_or_b32 exec_lo, exec_lo, s1
	s_clause 0x1
	s_load_dwordx2 s[0:1], s[4:5], 0x20
	s_load_dwordx2 s[4:5], s[4:5], 0x8
	v_lshlrev_b32_e32 v243, 4, v198
	s_waitcnt lgkmcnt(0)
	s_barrier
	buffer_gl0_inv
                                        ; implicit-def: $vgpr58_vgpr59
                                        ; implicit-def: $vgpr54_vgpr55
                                        ; implicit-def: $vgpr50_vgpr51
                                        ; implicit-def: $vgpr46_vgpr47
                                        ; implicit-def: $vgpr42_vgpr43
                                        ; implicit-def: $vgpr38_vgpr39
                                        ; implicit-def: $vgpr34_vgpr35
                                        ; implicit-def: $vgpr30_vgpr31
                                        ; implicit-def: $vgpr26_vgpr27
                                        ; implicit-def: $vgpr22_vgpr23
                                        ; implicit-def: $vgpr18_vgpr19
                                        ; implicit-def: $vgpr14_vgpr15
                                        ; implicit-def: $vgpr6_vgpr7
                                        ; implicit-def: $vgpr10_vgpr11
                                        ; implicit-def: $vgpr2_vgpr3
                                        ; implicit-def: $vgpr60_vgpr61
                                        ; implicit-def: $vgpr68_vgpr69
	s_and_saveexec_b32 s2, vcc_lo
	s_cbranch_execz .LBB0_5
; %bb.4:
	v_lshl_add_u32 v64, v255, 4, v243
	ds_read_b128 v[0:3], v212
	ds_read_b128 v[8:11], v64 offset:32
	ds_read_b128 v[4:7], v64 offset:64
	;; [unrolled: 1-line block ×16, first 2 shown]
.LBB0_5:
	s_or_b32 exec_lo, exec_lo, s2
	s_waitcnt lgkmcnt(0)
	v_add_f64 v[66:67], v[10:11], -v[70:71]
	s_mov_b32 s46, 0x5d8e7cdc
	s_mov_b32 s47, 0xbfd71e95
	v_add_f64 v[129:130], v[8:9], v[68:69]
	v_add_f64 v[64:65], v[8:9], -v[68:69]
	v_add_f64 v[147:148], v[6:7], -v[62:63]
	s_mov_b32 s2, 0x370991
	s_mov_b32 s44, 0x2a9d6da3
	;; [unrolled: 1-line block ×4, first 2 shown]
	v_add_f64 v[131:132], v[10:11], v[70:71]
	v_add_f64 v[137:138], v[4:5], v[60:61]
	v_add_f64 v[145:146], v[4:5], -v[60:61]
	s_mov_b32 s8, 0x75d4884
	s_mov_b32 s9, 0x3fe7a5f6
	v_add_f64 v[139:140], v[6:7], v[62:63]
	s_mov_b32 s16, 0xeb564b22
	s_mov_b32 s17, 0xbfefdd0d
	;; [unrolled: 1-line block ×6, first 2 shown]
	v_mul_f64 v[133:134], v[66:67], s[46:47]
	v_mul_f64 v[76:77], v[66:67], s[44:45]
	;; [unrolled: 1-line block ×3, first 2 shown]
	s_mov_b32 s14, 0x2b2883cd
	v_mul_f64 v[135:136], v[64:65], s[46:47]
	v_mul_f64 v[141:142], v[147:148], s[44:45]
	;; [unrolled: 1-line block ×3, first 2 shown]
	s_mov_b32 s24, 0x6c9a05f6
	s_mov_b32 s15, 0x3fdc86fa
	;; [unrolled: 1-line block ×5, first 2 shown]
	v_mul_f64 v[143:144], v[145:146], s[44:45]
	v_mul_f64 v[88:89], v[64:65], s[10:11]
	;; [unrolled: 1-line block ×3, first 2 shown]
	s_mov_b32 s34, 0xacd6c6b4
	s_mov_b32 s35, 0xbfc7851a
	;; [unrolled: 1-line block ×4, first 2 shown]
	v_mul_f64 v[96:97], v[64:65], s[16:17]
	s_mov_b32 s20, 0x923c349f
	s_mov_b32 s21, 0xbfeec746
	v_fma_f64 v[72:73], v[129:130], s[2:3], v[133:134]
	v_fma_f64 v[78:79], v[129:130], s[8:9], -v[76:77]
	v_fma_f64 v[76:77], v[129:130], s[8:9], v[76:77]
	v_fma_f64 v[86:87], v[129:130], s[14:15], -v[84:85]
	v_fma_f64 v[74:75], v[131:132], s[2:3], -v[135:136]
	v_fma_f64 v[149:150], v[137:138], s[8:9], v[141:142]
	v_fma_f64 v[82:83], v[131:132], s[8:9], v[80:81]
	v_fma_f64 v[80:81], v[131:132], s[8:9], -v[80:81]
	v_fma_f64 v[84:85], v[129:130], s[14:15], v[84:85]
	v_mul_f64 v[100:101], v[66:67], s[20:21]
	s_mov_b32 s22, 0xc61f0d01
	s_mov_b32 s28, 0x4363dd80
	;; [unrolled: 1-line block ×3, first 2 shown]
	v_fma_f64 v[90:91], v[131:132], s[14:15], v[88:89]
	v_fma_f64 v[88:89], v[131:132], s[14:15], -v[88:89]
	v_fma_f64 v[94:95], v[129:130], s[18:19], -v[92:93]
	v_fma_f64 v[92:93], v[129:130], s[18:19], v[92:93]
	s_mov_b32 s29, 0xbfe0d888
	s_mov_b32 s51, 0x3fe0d888
	v_fma_f64 v[98:99], v[131:132], s[18:19], v[96:97]
	v_fma_f64 v[96:97], v[131:132], s[18:19], -v[96:97]
	s_mov_b32 s50, s28
	v_add_f64 v[72:73], v[0:1], v[72:73]
	v_add_f64 v[78:79], v[0:1], v[78:79]
	;; [unrolled: 1-line block ×5, first 2 shown]
	s_mov_b32 s30, 0x910ea3b9
	v_add_f64 v[82:83], v[2:3], v[82:83]
	v_add_f64 v[80:81], v[2:3], v[80:81]
	;; [unrolled: 1-line block ×3, first 2 shown]
	v_fma_f64 v[102:103], v[129:130], s[22:23], -v[100:101]
	s_mov_b32 s31, 0xbfeb34fa
	v_mul_f64 v[104:105], v[64:65], s[20:21]
	v_fma_f64 v[100:101], v[129:130], s[22:23], v[100:101]
	v_add_f64 v[90:91], v[2:3], v[90:91]
	v_add_f64 v[88:89], v[2:3], v[88:89]
	;; [unrolled: 1-line block ×4, first 2 shown]
	v_mul_f64 v[108:109], v[66:67], s[24:25]
	s_mov_b32 s39, 0x3feec746
	s_mov_b32 s38, s20
	v_add_f64 v[96:97], v[2:3], v[96:97]
	v_add_f64 v[98:99], v[2:3], v[98:99]
	v_add_f64 v[72:73], v[149:150], v[72:73]
	v_fma_f64 v[149:150], v[139:140], s[8:9], -v[143:144]
	v_mul_f64 v[112:113], v[64:65], s[24:25]
	v_mul_f64 v[116:117], v[66:67], s[28:29]
	s_mov_b32 s43, 0x3feca52d
	s_mov_b32 s42, s10
	v_mul_f64 v[120:121], v[64:65], s[28:29]
	v_mul_f64 v[66:67], v[66:67], s[34:35]
	s_mov_b32 s55, 0x3fd71e95
	v_add_f64 v[102:103], v[0:1], v[102:103]
	s_mov_b32 s54, s46
	v_fma_f64 v[106:107], v[131:132], s[22:23], v[104:105]
	v_add_f64 v[100:101], v[0:1], v[100:101]
	v_fma_f64 v[104:105], v[131:132], s[22:23], -v[104:105]
	v_mul_f64 v[64:65], v[64:65], s[34:35]
	v_add_f64 v[155:156], v[12:13], -v[56:57]
	s_mov_b32 s49, 0x3fe9895b
	v_fma_f64 v[110:111], v[129:130], s[26:27], -v[108:109]
	v_fma_f64 v[108:109], v[129:130], s[26:27], v[108:109]
	s_mov_b32 s48, s24
	s_mov_b32 s57, 0x3fc7851a
	;; [unrolled: 1-line block ×4, first 2 shown]
	v_add_f64 v[74:75], v[149:150], v[74:75]
	v_mul_f64 v[149:150], v[147:148], s[16:17]
	v_fma_f64 v[114:115], v[131:132], s[26:27], v[112:113]
	v_fma_f64 v[112:113], v[131:132], s[26:27], -v[112:113]
	v_fma_f64 v[118:119], v[129:130], s[30:31], -v[116:117]
	v_fma_f64 v[116:117], v[129:130], s[30:31], v[116:117]
	v_fma_f64 v[122:123], v[131:132], s[30:31], v[120:121]
	v_fma_f64 v[120:121], v[131:132], s[30:31], -v[120:121]
	v_fma_f64 v[124:125], v[129:130], s[36:37], -v[66:67]
	v_fma_f64 v[66:67], v[129:130], s[36:37], v[66:67]
	v_add_f64 v[106:107], v[2:3], v[106:107]
	s_mov_b32 s52, s44
	v_add_f64 v[104:105], v[2:3], v[104:105]
	v_fma_f64 v[126:127], v[131:132], s[36:37], v[64:65]
	v_fma_f64 v[64:65], v[131:132], s[36:37], -v[64:65]
	s_mov_b32 s41, 0x3fefdd0d
	v_add_f64 v[110:111], v[0:1], v[110:111]
	v_add_f64 v[108:109], v[0:1], v[108:109]
	s_mov_b32 s40, s16
	v_add_f64 v[163:164], v[16:17], -v[52:53]
	v_add_f64 v[171:172], v[20:21], -v[48:49]
	;; [unrolled: 1-line block ×3, first 2 shown]
	v_add_f64 v[189:190], v[40:41], v[28:29]
	v_fma_f64 v[151:152], v[137:138], s[18:19], -v[149:150]
	v_fma_f64 v[149:150], v[137:138], s[18:19], v[149:150]
	v_add_f64 v[112:113], v[2:3], v[112:113]
	v_add_f64 v[118:119], v[0:1], v[118:119]
	;; [unrolled: 1-line block ×8, first 2 shown]
	v_add_f64 v[191:192], v[28:29], -v[40:41]
	v_add_f64 v[195:196], v[36:37], v[32:33]
	v_add_f64 v[126:127], v[2:3], v[126:127]
	;; [unrolled: 1-line block ×3, first 2 shown]
	v_add_f64 v[193:194], v[32:33], -v[36:37]
	s_barrier
	buffer_gl0_inv
	v_add_f64 v[78:79], v[151:152], v[78:79]
	v_mul_f64 v[151:152], v[145:146], s[16:17]
	v_add_f64 v[76:77], v[149:150], v[76:77]
	v_fma_f64 v[149:150], v[139:140], s[18:19], -v[151:152]
	v_fma_f64 v[153:154], v[139:140], s[18:19], v[151:152]
	v_add_f64 v[80:81], v[149:150], v[80:81]
	v_mul_f64 v[149:150], v[147:148], s[24:25]
	v_add_f64 v[82:83], v[153:154], v[82:83]
	v_fma_f64 v[151:152], v[137:138], s[26:27], -v[149:150]
	v_fma_f64 v[149:150], v[137:138], s[26:27], v[149:150]
	;; [unrolled: 5-line block ×9, first 2 shown]
	v_add_f64 v[112:113], v[149:150], v[112:113]
	v_mul_f64 v[149:150], v[147:148], s[42:43]
	v_mul_f64 v[147:148], v[147:148], s[54:55]
	v_add_f64 v[114:115], v[153:154], v[114:115]
	v_fma_f64 v[151:152], v[137:138], s[14:15], -v[149:150]
	v_fma_f64 v[149:150], v[137:138], s[14:15], v[149:150]
	v_add_f64 v[118:119], v[151:152], v[118:119]
	v_mul_f64 v[151:152], v[145:146], s[42:43]
	v_add_f64 v[116:117], v[149:150], v[116:117]
	v_mul_f64 v[145:146], v[145:146], s[54:55]
	v_fma_f64 v[149:150], v[139:140], s[14:15], -v[151:152]
	v_fma_f64 v[153:154], v[139:140], s[14:15], v[151:152]
	v_add_f64 v[151:152], v[14:15], -v[58:59]
	v_add_f64 v[120:121], v[149:150], v[120:121]
	v_fma_f64 v[149:150], v[137:138], s[2:3], -v[147:148]
	v_add_f64 v[122:123], v[153:154], v[122:123]
	v_add_f64 v[153:154], v[56:57], v[12:13]
	v_fma_f64 v[147:148], v[137:138], s[2:3], v[147:148]
	v_add_f64 v[124:125], v[149:150], v[124:125]
	v_fma_f64 v[149:150], v[139:140], s[2:3], v[145:146]
	v_fma_f64 v[145:146], v[139:140], s[2:3], -v[145:146]
	v_add_f64 v[66:67], v[147:148], v[66:67]
	v_add_f64 v[147:148], v[58:59], v[14:15]
	;; [unrolled: 1-line block ×4, first 2 shown]
	v_mul_f64 v[145:146], v[153:154], s[14:15]
	v_mul_f64 v[149:150], v[155:156], s[10:11]
	v_fma_f64 v[157:158], v[151:152], s[10:11], v[145:146]
	v_add_f64 v[72:73], v[157:158], v[72:73]
	v_fma_f64 v[157:158], v[147:148], s[14:15], -v[149:150]
	v_add_f64 v[74:75], v[157:158], v[74:75]
	v_mul_f64 v[157:158], v[153:154], s[26:27]
	v_fma_f64 v[159:160], v[151:152], s[48:49], v[157:158]
	v_fma_f64 v[157:158], v[151:152], s[24:25], v[157:158]
	v_add_f64 v[78:79], v[159:160], v[78:79]
	v_mul_f64 v[159:160], v[155:156], s[24:25]
	v_add_f64 v[76:77], v[157:158], v[76:77]
	v_fma_f64 v[157:158], v[147:148], s[26:27], -v[159:160]
	v_fma_f64 v[161:162], v[147:148], s[26:27], v[159:160]
	v_add_f64 v[80:81], v[157:158], v[80:81]
	v_mul_f64 v[157:158], v[153:154], s[36:37]
	v_add_f64 v[82:83], v[161:162], v[82:83]
	v_fma_f64 v[159:160], v[151:152], s[34:35], v[157:158]
	v_fma_f64 v[157:158], v[151:152], s[56:57], v[157:158]
	v_add_f64 v[86:87], v[159:160], v[86:87]
	v_mul_f64 v[159:160], v[155:156], s[56:57]
	v_add_f64 v[84:85], v[157:158], v[84:85]
	v_fma_f64 v[157:158], v[147:148], s[36:37], -v[159:160]
	v_fma_f64 v[161:162], v[147:148], s[36:37], v[159:160]
	v_add_f64 v[88:89], v[157:158], v[88:89]
	v_mul_f64 v[157:158], v[153:154], s[22:23]
	v_add_f64 v[90:91], v[161:162], v[90:91]
	;; [unrolled: 10-line block ×4, first 2 shown]
	v_fma_f64 v[159:160], v[151:152], s[54:55], v[157:158]
	v_fma_f64 v[157:158], v[151:152], s[46:47], v[157:158]
	v_add_f64 v[110:111], v[159:160], v[110:111]
	v_mul_f64 v[159:160], v[155:156], s[46:47]
	v_add_f64 v[108:109], v[157:158], v[108:109]
	v_fma_f64 v[157:158], v[147:148], s[2:3], -v[159:160]
	v_fma_f64 v[161:162], v[147:148], s[2:3], v[159:160]
	v_add_f64 v[112:113], v[157:158], v[112:113]
	v_mul_f64 v[157:158], v[153:154], s[18:19]
	v_mul_f64 v[153:154], v[153:154], s[30:31]
	v_add_f64 v[114:115], v[161:162], v[114:115]
	v_fma_f64 v[159:160], v[151:152], s[40:41], v[157:158]
	v_fma_f64 v[157:158], v[151:152], s[16:17], v[157:158]
	v_add_f64 v[118:119], v[159:160], v[118:119]
	v_mul_f64 v[159:160], v[155:156], s[16:17]
	v_add_f64 v[116:117], v[157:158], v[116:117]
	v_mul_f64 v[155:156], v[155:156], s[28:29]
	v_fma_f64 v[157:158], v[147:148], s[18:19], -v[159:160]
	v_fma_f64 v[161:162], v[147:148], s[18:19], v[159:160]
	v_add_f64 v[159:160], v[18:19], -v[54:55]
	v_add_f64 v[120:121], v[157:158], v[120:121]
	v_fma_f64 v[157:158], v[151:152], s[50:51], v[153:154]
	v_fma_f64 v[153:154], v[151:152], s[28:29], v[153:154]
	v_add_f64 v[122:123], v[161:162], v[122:123]
	v_add_f64 v[161:162], v[52:53], v[16:17]
	;; [unrolled: 1-line block ×4, first 2 shown]
	v_fma_f64 v[153:154], v[147:148], s[30:31], -v[155:156]
	v_fma_f64 v[157:158], v[147:148], s[30:31], v[155:156]
	v_add_f64 v[155:156], v[54:55], v[18:19]
	v_add_f64 v[64:65], v[153:154], v[64:65]
	v_mul_f64 v[153:154], v[161:162], s[18:19]
	v_add_f64 v[126:127], v[157:158], v[126:127]
	v_mul_f64 v[157:158], v[163:164], s[16:17]
	v_fma_f64 v[165:166], v[159:160], s[16:17], v[153:154]
	v_add_f64 v[72:73], v[165:166], v[72:73]
	v_fma_f64 v[165:166], v[155:156], s[18:19], -v[157:158]
	v_add_f64 v[74:75], v[165:166], v[74:75]
	v_mul_f64 v[165:166], v[161:162], s[36:37]
	v_fma_f64 v[167:168], v[159:160], s[56:57], v[165:166]
	v_fma_f64 v[165:166], v[159:160], s[34:35], v[165:166]
	v_add_f64 v[78:79], v[167:168], v[78:79]
	v_mul_f64 v[167:168], v[163:164], s[34:35]
	v_add_f64 v[76:77], v[165:166], v[76:77]
	v_fma_f64 v[165:166], v[155:156], s[36:37], -v[167:168]
	v_fma_f64 v[169:170], v[155:156], s[36:37], v[167:168]
	v_add_f64 v[80:81], v[165:166], v[80:81]
	v_mul_f64 v[165:166], v[161:162], s[22:23]
	v_add_f64 v[82:83], v[169:170], v[82:83]
	v_fma_f64 v[167:168], v[159:160], s[20:21], v[165:166]
	v_fma_f64 v[165:166], v[159:160], s[38:39], v[165:166]
	v_add_f64 v[86:87], v[167:168], v[86:87]
	v_mul_f64 v[167:168], v[163:164], s[38:39]
	v_add_f64 v[84:85], v[165:166], v[84:85]
	v_fma_f64 v[165:166], v[155:156], s[22:23], -v[167:168]
	v_fma_f64 v[169:170], v[155:156], s[22:23], v[167:168]
	v_add_f64 v[88:89], v[165:166], v[88:89]
	v_mul_f64 v[165:166], v[161:162], s[2:3]
	v_add_f64 v[90:91], v[169:170], v[90:91]
	;; [unrolled: 10-line block ×4, first 2 shown]
	v_fma_f64 v[167:168], v[159:160], s[50:51], v[165:166]
	v_fma_f64 v[165:166], v[159:160], s[28:29], v[165:166]
	v_add_f64 v[110:111], v[167:168], v[110:111]
	v_mul_f64 v[167:168], v[163:164], s[28:29]
	v_add_f64 v[108:109], v[165:166], v[108:109]
	v_fma_f64 v[165:166], v[155:156], s[30:31], -v[167:168]
	v_fma_f64 v[169:170], v[155:156], s[30:31], v[167:168]
	v_add_f64 v[112:113], v[165:166], v[112:113]
	v_mul_f64 v[165:166], v[161:162], s[26:27]
	v_mul_f64 v[161:162], v[161:162], s[8:9]
	v_add_f64 v[114:115], v[169:170], v[114:115]
	v_fma_f64 v[167:168], v[159:160], s[24:25], v[165:166]
	v_fma_f64 v[165:166], v[159:160], s[48:49], v[165:166]
	v_add_f64 v[118:119], v[167:168], v[118:119]
	v_mul_f64 v[167:168], v[163:164], s[48:49]
	v_add_f64 v[116:117], v[165:166], v[116:117]
	v_mul_f64 v[163:164], v[163:164], s[52:53]
	v_fma_f64 v[165:166], v[155:156], s[26:27], -v[167:168]
	v_fma_f64 v[169:170], v[155:156], s[26:27], v[167:168]
	v_add_f64 v[167:168], v[22:23], -v[50:51]
	v_add_f64 v[120:121], v[165:166], v[120:121]
	v_fma_f64 v[165:166], v[159:160], s[44:45], v[161:162]
	v_fma_f64 v[161:162], v[159:160], s[52:53], v[161:162]
	v_add_f64 v[122:123], v[169:170], v[122:123]
	v_add_f64 v[169:170], v[48:49], v[20:21]
	;; [unrolled: 1-line block ×4, first 2 shown]
	v_fma_f64 v[161:162], v[155:156], s[8:9], -v[163:164]
	v_fma_f64 v[165:166], v[155:156], s[8:9], v[163:164]
	v_add_f64 v[163:164], v[50:51], v[22:23]
	v_add_f64 v[64:65], v[161:162], v[64:65]
	v_mul_f64 v[161:162], v[169:170], s[22:23]
	v_add_f64 v[126:127], v[165:166], v[126:127]
	v_mul_f64 v[165:166], v[171:172], s[20:21]
	v_fma_f64 v[173:174], v[167:168], s[20:21], v[161:162]
	v_add_f64 v[72:73], v[173:174], v[72:73]
	v_fma_f64 v[173:174], v[163:164], s[22:23], -v[165:166]
	v_add_f64 v[74:75], v[173:174], v[74:75]
	v_mul_f64 v[173:174], v[169:170], s[30:31]
	v_fma_f64 v[175:176], v[167:168], s[28:29], v[173:174]
	v_fma_f64 v[173:174], v[167:168], s[50:51], v[173:174]
	v_add_f64 v[78:79], v[175:176], v[78:79]
	v_mul_f64 v[175:176], v[171:172], s[50:51]
	v_add_f64 v[76:77], v[173:174], v[76:77]
	v_fma_f64 v[173:174], v[163:164], s[30:31], -v[175:176]
	v_fma_f64 v[177:178], v[163:164], s[30:31], v[175:176]
	v_add_f64 v[80:81], v[173:174], v[80:81]
	v_mul_f64 v[173:174], v[169:170], s[8:9]
	v_add_f64 v[82:83], v[177:178], v[82:83]
	v_fma_f64 v[175:176], v[167:168], s[44:45], v[173:174]
	v_fma_f64 v[173:174], v[167:168], s[52:53], v[173:174]
	v_add_f64 v[86:87], v[175:176], v[86:87]
	v_mul_f64 v[175:176], v[171:172], s[52:53]
	v_add_f64 v[84:85], v[173:174], v[84:85]
	v_fma_f64 v[173:174], v[163:164], s[8:9], -v[175:176]
	v_fma_f64 v[177:178], v[163:164], s[8:9], v[175:176]
	v_add_f64 v[88:89], v[173:174], v[88:89]
	v_mul_f64 v[173:174], v[169:170], s[14:15]
	v_add_f64 v[90:91], v[177:178], v[90:91]
	;; [unrolled: 10-line block ×4, first 2 shown]
	v_fma_f64 v[175:176], v[167:168], s[16:17], v[173:174]
	v_fma_f64 v[173:174], v[167:168], s[40:41], v[173:174]
	v_add_f64 v[110:111], v[175:176], v[110:111]
	v_mul_f64 v[175:176], v[171:172], s[40:41]
	v_add_f64 v[108:109], v[173:174], v[108:109]
	v_fma_f64 v[173:174], v[163:164], s[18:19], -v[175:176]
	v_fma_f64 v[177:178], v[163:164], s[18:19], v[175:176]
	v_add_f64 v[112:113], v[173:174], v[112:113]
	v_mul_f64 v[173:174], v[169:170], s[2:3]
	v_mul_f64 v[169:170], v[169:170], s[26:27]
	v_add_f64 v[114:115], v[177:178], v[114:115]
	v_fma_f64 v[175:176], v[167:168], s[54:55], v[173:174]
	v_fma_f64 v[173:174], v[167:168], s[46:47], v[173:174]
	v_add_f64 v[118:119], v[175:176], v[118:119]
	v_mul_f64 v[175:176], v[171:172], s[46:47]
	v_add_f64 v[116:117], v[173:174], v[116:117]
	v_mul_f64 v[171:172], v[171:172], s[24:25]
	v_fma_f64 v[173:174], v[163:164], s[2:3], -v[175:176]
	v_fma_f64 v[177:178], v[163:164], s[2:3], v[175:176]
	v_add_f64 v[175:176], v[26:27], -v[46:47]
	v_add_f64 v[120:121], v[173:174], v[120:121]
	v_fma_f64 v[173:174], v[167:168], s[48:49], v[169:170]
	v_fma_f64 v[169:170], v[167:168], s[24:25], v[169:170]
	v_add_f64 v[122:123], v[177:178], v[122:123]
	v_add_f64 v[177:178], v[44:45], v[24:25]
	;; [unrolled: 1-line block ×4, first 2 shown]
	v_fma_f64 v[169:170], v[163:164], s[26:27], -v[171:172]
	v_fma_f64 v[173:174], v[163:164], s[26:27], v[171:172]
	v_add_f64 v[171:172], v[46:47], v[26:27]
	v_add_f64 v[64:65], v[169:170], v[64:65]
	v_mul_f64 v[169:170], v[177:178], s[26:27]
	v_add_f64 v[126:127], v[173:174], v[126:127]
	v_mul_f64 v[173:174], v[179:180], s[24:25]
	v_fma_f64 v[181:182], v[175:176], s[24:25], v[169:170]
	v_add_f64 v[72:73], v[181:182], v[72:73]
	v_fma_f64 v[181:182], v[171:172], s[26:27], -v[173:174]
	v_add_f64 v[74:75], v[181:182], v[74:75]
	v_mul_f64 v[181:182], v[177:178], s[22:23]
	v_fma_f64 v[183:184], v[175:176], s[20:21], v[181:182]
	v_fma_f64 v[181:182], v[175:176], s[38:39], v[181:182]
	v_add_f64 v[78:79], v[183:184], v[78:79]
	v_mul_f64 v[183:184], v[179:180], s[38:39]
	v_add_f64 v[76:77], v[181:182], v[76:77]
	v_fma_f64 v[181:182], v[171:172], s[22:23], -v[183:184]
	v_fma_f64 v[185:186], v[171:172], s[22:23], v[183:184]
	v_add_f64 v[80:81], v[181:182], v[80:81]
	v_mul_f64 v[181:182], v[177:178], s[2:3]
	v_add_f64 v[82:83], v[185:186], v[82:83]
	v_fma_f64 v[183:184], v[175:176], s[54:55], v[181:182]
	v_fma_f64 v[181:182], v[175:176], s[46:47], v[181:182]
	v_add_f64 v[86:87], v[183:184], v[86:87]
	v_mul_f64 v[183:184], v[179:180], s[46:47]
	v_fma_f64 v[185:186], v[171:172], s[2:3], v[183:184]
	v_add_f64 v[90:91], v[185:186], v[90:91]
	v_add_f64 v[185:186], v[181:182], v[84:85]
	v_fma_f64 v[84:85], v[171:172], s[2:3], -v[183:184]
	v_add_f64 v[88:89], v[84:85], v[88:89]
	v_mul_f64 v[84:85], v[177:178], s[30:31]
	v_fma_f64 v[181:182], v[175:176], s[50:51], v[84:85]
	v_fma_f64 v[84:85], v[175:176], s[28:29], v[84:85]
	v_add_f64 v[94:95], v[181:182], v[94:95]
	v_mul_f64 v[181:182], v[179:180], s[28:29]
	v_add_f64 v[187:188], v[84:85], v[92:93]
	v_fma_f64 v[84:85], v[171:172], s[30:31], -v[181:182]
	v_fma_f64 v[183:184], v[171:172], s[30:31], v[181:182]
	v_add_f64 v[96:97], v[84:85], v[96:97]
	v_mul_f64 v[84:85], v[177:178], s[18:19]
	v_add_f64 v[98:99], v[183:184], v[98:99]
	v_add_f64 v[183:184], v[30:31], -v[42:43]
	v_fma_f64 v[92:93], v[175:176], s[16:17], v[84:85]
	v_fma_f64 v[84:85], v[175:176], s[40:41], v[84:85]
	v_add_f64 v[102:103], v[92:93], v[102:103]
	v_mul_f64 v[92:93], v[179:180], s[40:41]
	v_add_f64 v[100:101], v[84:85], v[100:101]
	v_fma_f64 v[84:85], v[171:172], s[18:19], -v[92:93]
	v_fma_f64 v[181:182], v[171:172], s[18:19], v[92:93]
	v_add_f64 v[104:105], v[84:85], v[104:105]
	v_mul_f64 v[84:85], v[177:178], s[8:9]
	v_add_f64 v[106:107], v[181:182], v[106:107]
	v_fma_f64 v[92:93], v[175:176], s[52:53], v[84:85]
	v_fma_f64 v[84:85], v[175:176], s[44:45], v[84:85]
	v_add_f64 v[110:111], v[92:93], v[110:111]
	v_mul_f64 v[92:93], v[179:180], s[44:45]
	v_add_f64 v[108:109], v[84:85], v[108:109]
	v_fma_f64 v[84:85], v[171:172], s[8:9], -v[92:93]
	v_fma_f64 v[181:182], v[171:172], s[8:9], v[92:93]
	v_add_f64 v[112:113], v[84:85], v[112:113]
	v_mul_f64 v[84:85], v[177:178], s[36:37]
	v_add_f64 v[114:115], v[181:182], v[114:115]
	;; [unrolled: 10-line block ×3, first 2 shown]
	v_mul_f64 v[181:182], v[191:192], s[28:29]
	v_fma_f64 v[92:93], v[175:176], s[10:11], v[84:85]
	v_fma_f64 v[84:85], v[175:176], s[42:43], v[84:85]
	v_add_f64 v[124:125], v[92:93], v[124:125]
	v_mul_f64 v[92:93], v[179:180], s[42:43]
	v_add_f64 v[66:67], v[84:85], v[66:67]
	v_add_f64 v[179:180], v[42:43], v[30:31]
	v_fma_f64 v[177:178], v[171:172], s[14:15], v[92:93]
	v_fma_f64 v[84:85], v[171:172], s[14:15], -v[92:93]
	v_add_f64 v[126:127], v[177:178], v[126:127]
	v_mul_f64 v[177:178], v[189:190], s[30:31]
	v_add_f64 v[64:65], v[84:85], v[64:65]
	v_fma_f64 v[84:85], v[183:184], s[28:29], v[177:178]
	v_add_f64 v[215:216], v[84:85], v[72:73]
	v_fma_f64 v[72:73], v[179:180], s[30:31], -v[181:182]
	v_add_f64 v[217:218], v[72:73], v[74:75]
	v_mul_f64 v[72:73], v[189:190], s[14:15]
	v_fma_f64 v[74:75], v[183:184], s[10:11], v[72:73]
	v_fma_f64 v[72:73], v[183:184], s[42:43], v[72:73]
	v_add_f64 v[78:79], v[74:75], v[78:79]
	v_mul_f64 v[74:75], v[191:192], s[42:43]
	v_add_f64 v[72:73], v[72:73], v[76:77]
	v_mul_f64 v[76:77], v[189:190], s[18:19]
	v_fma_f64 v[84:85], v[179:180], s[14:15], v[74:75]
	v_fma_f64 v[74:75], v[179:180], s[14:15], -v[74:75]
	v_add_f64 v[219:220], v[84:85], v[82:83]
	v_add_f64 v[74:75], v[74:75], v[80:81]
	v_fma_f64 v[80:81], v[183:184], s[40:41], v[76:77]
	v_mul_f64 v[82:83], v[191:192], s[16:17]
	v_fma_f64 v[76:77], v[183:184], s[16:17], v[76:77]
	v_add_f64 v[84:85], v[80:81], v[86:87]
	v_fma_f64 v[80:81], v[179:180], s[18:19], v[82:83]
	v_add_f64 v[86:87], v[80:81], v[90:91]
	v_add_f64 v[80:81], v[76:77], v[185:186]
	v_fma_f64 v[76:77], v[179:180], s[18:19], -v[82:83]
	v_mul_f64 v[90:91], v[191:192], s[48:49]
	v_mul_f64 v[185:186], v[191:192], s[20:21]
	v_add_f64 v[82:83], v[76:77], v[88:89]
	v_mul_f64 v[76:77], v[189:190], s[26:27]
	v_fma_f64 v[88:89], v[183:184], s[24:25], v[76:77]
	v_fma_f64 v[76:77], v[183:184], s[48:49], v[76:77]
	v_add_f64 v[92:93], v[88:89], v[94:95]
	v_fma_f64 v[88:89], v[179:180], s[26:27], v[90:91]
	v_add_f64 v[94:95], v[88:89], v[98:99]
	v_add_f64 v[88:89], v[76:77], v[187:188]
	v_fma_f64 v[76:77], v[179:180], s[26:27], -v[90:91]
	v_mul_f64 v[187:188], v[195:196], s[36:37]
	v_add_f64 v[90:91], v[76:77], v[96:97]
	v_mul_f64 v[76:77], v[189:190], s[2:3]
	v_fma_f64 v[96:97], v[183:184], s[54:55], v[76:77]
	v_fma_f64 v[76:77], v[183:184], s[46:47], v[76:77]
	v_add_f64 v[96:97], v[96:97], v[102:103]
	v_mul_f64 v[102:103], v[191:192], s[46:47]
	v_add_f64 v[100:101], v[76:77], v[100:101]
	v_fma_f64 v[76:77], v[179:180], s[2:3], -v[102:103]
	v_fma_f64 v[98:99], v[179:180], s[2:3], v[102:103]
	v_add_f64 v[102:103], v[76:77], v[104:105]
	v_mul_f64 v[76:77], v[189:190], s[36:37]
	v_add_f64 v[98:99], v[98:99], v[106:107]
	v_fma_f64 v[104:105], v[183:184], s[56:57], v[76:77]
	v_fma_f64 v[76:77], v[183:184], s[34:35], v[76:77]
	v_add_f64 v[104:105], v[104:105], v[110:111]
	v_mul_f64 v[110:111], v[191:192], s[34:35]
	v_add_f64 v[108:109], v[76:77], v[108:109]
	v_fma_f64 v[76:77], v[179:180], s[36:37], -v[110:111]
	v_fma_f64 v[106:107], v[179:180], s[36:37], v[110:111]
	v_add_f64 v[110:111], v[76:77], v[112:113]
	v_mul_f64 v[76:77], v[189:190], s[8:9]
	v_add_f64 v[106:107], v[106:107], v[114:115]
	v_fma_f64 v[112:113], v[183:184], s[44:45], v[76:77]
	v_fma_f64 v[76:77], v[183:184], s[52:53], v[76:77]
	v_add_f64 v[112:113], v[112:113], v[118:119]
	v_mul_f64 v[118:119], v[191:192], s[52:53]
	v_add_f64 v[116:117], v[76:77], v[116:117]
	v_add_f64 v[191:192], v[34:35], -v[38:39]
	v_fma_f64 v[76:77], v[179:180], s[8:9], -v[118:119]
	v_fma_f64 v[114:115], v[179:180], s[8:9], v[118:119]
	v_add_f64 v[118:119], v[76:77], v[120:121]
	v_mul_f64 v[76:77], v[189:190], s[22:23]
	v_add_f64 v[114:115], v[114:115], v[122:123]
	v_fma_f64 v[122:123], v[179:180], s[22:23], v[185:186]
	v_mul_f64 v[189:190], v[193:194], s[34:35]
	v_fma_f64 v[120:121], v[183:184], s[38:39], v[76:77]
	v_fma_f64 v[76:77], v[183:184], s[20:21], v[76:77]
	v_add_f64 v[122:123], v[122:123], v[126:127]
	v_add_f64 v[120:121], v[120:121], v[124:125]
	;; [unrolled: 1-line block ×3, first 2 shown]
	v_fma_f64 v[66:67], v[179:180], s[22:23], -v[185:186]
	v_add_f64 v[185:186], v[38:39], v[34:35]
	v_add_f64 v[126:127], v[66:67], v[64:65]
	v_fma_f64 v[64:65], v[191:192], s[34:35], v[187:188]
	v_fma_f64 v[66:67], v[185:186], s[36:37], -v[189:190]
	v_add_f64 v[244:245], v[64:65], v[215:216]
	v_mul_f64 v[215:216], v[195:196], s[2:3]
	v_add_f64 v[246:247], v[66:67], v[217:218]
	v_mul_f64 v[217:218], v[193:194], s[54:55]
	v_fma_f64 v[76:77], v[191:192], s[46:47], v[215:216]
	v_fma_f64 v[215:216], v[191:192], s[54:55], v[215:216]
	v_add_f64 v[248:249], v[76:77], v[78:79]
	v_add_f64 v[64:65], v[215:216], v[72:73]
	v_fma_f64 v[215:216], v[185:186], s[2:3], -v[217:218]
	v_fma_f64 v[78:79], v[185:186], s[2:3], v[217:218]
	v_add_f64 v[66:67], v[215:216], v[74:75]
	v_mul_f64 v[215:216], v[195:196], s[30:31]
	v_add_f64 v[250:251], v[78:79], v[219:220]
	v_fma_f64 v[217:218], v[191:192], s[50:51], v[215:216]
	v_fma_f64 v[215:216], v[191:192], s[28:29], v[215:216]
	v_add_f64 v[76:77], v[217:218], v[84:85]
	v_mul_f64 v[217:218], v[193:194], s[28:29]
	v_add_f64 v[72:73], v[215:216], v[80:81]
	v_fma_f64 v[215:216], v[185:186], s[30:31], -v[217:218]
	v_fma_f64 v[219:220], v[185:186], s[30:31], v[217:218]
	v_add_f64 v[74:75], v[215:216], v[82:83]
	v_mul_f64 v[215:216], v[195:196], s[8:9]
	v_add_f64 v[78:79], v[219:220], v[86:87]
	v_fma_f64 v[217:218], v[191:192], s[44:45], v[215:216]
	v_fma_f64 v[215:216], v[191:192], s[52:53], v[215:216]
	v_add_f64 v[84:85], v[217:218], v[92:93]
	v_mul_f64 v[217:218], v[193:194], s[52:53]
	;; [unrolled: 10-line block ×4, first 2 shown]
	v_add_f64 v[96:97], v[215:216], v[108:109]
	v_fma_f64 v[215:216], v[185:186], s[14:15], -v[217:218]
	v_fma_f64 v[219:220], v[185:186], s[14:15], v[217:218]
	v_add_f64 v[98:99], v[215:216], v[110:111]
	v_mul_f64 v[215:216], v[195:196], s[22:23]
	v_mul_f64 v[195:196], v[195:196], s[18:19]
	v_add_f64 v[102:103], v[219:220], v[106:107]
	v_fma_f64 v[217:218], v[191:192], s[38:39], v[215:216]
	v_fma_f64 v[215:216], v[191:192], s[20:21], v[215:216]
	v_add_f64 v[104:105], v[217:218], v[112:113]
	v_mul_f64 v[217:218], v[193:194], s[20:21]
	v_add_f64 v[108:109], v[215:216], v[116:117]
	v_mul_f64 v[193:194], v[193:194], s[40:41]
	v_fma_f64 v[215:216], v[185:186], s[22:23], -v[217:218]
	v_fma_f64 v[219:220], v[185:186], s[22:23], v[217:218]
	v_add_f64 v[110:111], v[215:216], v[118:119]
	v_fma_f64 v[215:216], v[191:192], s[16:17], v[195:196]
	v_fma_f64 v[195:196], v[191:192], s[40:41], v[195:196]
	v_add_f64 v[106:107], v[219:220], v[114:115]
	v_add_f64 v[112:113], v[215:216], v[120:121]
	v_fma_f64 v[215:216], v[185:186], s[18:19], v[193:194]
	v_fma_f64 v[193:194], v[185:186], s[18:19], -v[193:194]
	v_add_f64 v[116:117], v[195:196], v[124:125]
	v_add_f64 v[114:115], v[215:216], v[122:123]
	;; [unrolled: 1-line block ×3, first 2 shown]
	v_mul_lo_u16 v193, v255, 17
	s_and_saveexec_b32 s33, vcc_lo
	s_cbranch_execz .LBB0_7
; %bb.6:
	v_add_f64 v[10:11], v[10:11], v[2:3]
	v_add_f64 v[8:9], v[8:9], v[0:1]
	;; [unrolled: 1-line block ×4, first 2 shown]
	v_mul_f64 v[8:9], v[131:132], s[2:3]
	v_mul_f64 v[10:11], v[129:130], s[2:3]
	v_add_f64 v[6:7], v[14:15], v[6:7]
	v_add_f64 v[4:5], v[12:13], v[4:5]
	v_mul_f64 v[12:13], v[139:140], s[8:9]
	v_mul_f64 v[14:15], v[137:138], s[8:9]
	v_add_f64 v[8:9], v[135:136], v[8:9]
	v_add_f64 v[10:11], v[10:11], -v[133:134]
	v_add_f64 v[6:7], v[18:19], v[6:7]
	v_add_f64 v[4:5], v[16:17], v[4:5]
	v_mul_f64 v[16:17], v[151:152], s[10:11]
	v_mul_f64 v[18:19], v[147:148], s[14:15]
	v_add_f64 v[12:13], v[143:144], v[12:13]
	v_add_f64 v[14:15], v[14:15], -v[141:142]
	v_add_f64 v[2:3], v[2:3], v[8:9]
	v_add_f64 v[0:1], v[0:1], v[10:11]
	v_mul_f64 v[8:9], v[159:160], s[16:17]
	v_mul_f64 v[10:11], v[155:156], s[18:19]
	v_add_f64 v[6:7], v[22:23], v[6:7]
	v_add_f64 v[4:5], v[20:21], v[4:5]
	v_add_f64 v[16:17], v[145:146], -v[16:17]
	v_add_f64 v[18:19], v[18:19], v[149:150]
	v_add_f64 v[2:3], v[12:13], v[2:3]
	v_add_f64 v[0:1], v[14:15], v[0:1]
	v_mul_f64 v[12:13], v[167:168], s[20:21]
	v_mul_f64 v[14:15], v[163:164], s[22:23]
	v_add_f64 v[10:11], v[10:11], v[157:158]
	v_add_f64 v[8:9], v[153:154], -v[8:9]
	v_add_f64 v[6:7], v[26:27], v[6:7]
	v_add_f64 v[4:5], v[24:25], v[4:5]
	v_add_f64 v[2:3], v[18:19], v[2:3]
	v_add_f64 v[0:1], v[16:17], v[0:1]
	v_mul_f64 v[16:17], v[175:176], s[24:25]
	v_mul_f64 v[18:19], v[171:172], s[26:27]
	v_add_f64 v[14:15], v[14:15], v[165:166]
	v_add_f64 v[12:13], v[161:162], -v[12:13]
	v_add_f64 v[6:7], v[30:31], v[6:7]
	;; [unrolled: 8-line block ×4, first 2 shown]
	v_add_f64 v[4:5], v[36:37], v[4:5]
	v_add_f64 v[2:3], v[18:19], v[2:3]
	;; [unrolled: 1-line block ×3, first 2 shown]
	v_add_f64 v[12:13], v[187:188], -v[12:13]
	v_add_f64 v[14:15], v[14:15], v[189:190]
	v_add_f64 v[6:7], v[42:43], v[6:7]
	v_add_f64 v[4:5], v[40:41], v[4:5]
	v_add_f64 v[2:3], v[10:11], v[2:3]
	v_add_f64 v[0:1], v[8:9], v[0:1]
	v_and_b32_e32 v8, 0xffff, v193
	v_add_lshl_u32 v8, v198, v8, 4
	v_add_f64 v[6:7], v[46:47], v[6:7]
	v_add_f64 v[4:5], v[44:45], v[4:5]
	;; [unrolled: 1-line block ×14, first 2 shown]
	ds_write_b128 v8, v[248:251] offset:32
	ds_write_b128 v8, v[76:79] offset:48
	;; [unrolled: 1-line block ×15, first 2 shown]
	ds_write_b128 v8, v[4:7]
	ds_write_b128 v8, v[244:247] offset:256
.LBB0_7:
	s_or_b32 exec_lo, exec_lo, s33
	s_load_dwordx4 s[0:3], s[0:1], 0x0
	s_waitcnt lgkmcnt(0)
	s_barrier
	buffer_gl0_inv
	global_load_dwordx4 v[0:3], v211, s[4:5]
	v_add_lshl_u32 v163, v198, v255, 4
	v_lshl_add_u32 v164, v255, 4, v243
	ds_read_b128 v[4:7], v163 offset:272
	s_waitcnt vmcnt(0) lgkmcnt(0)
	v_mul_f64 v[8:9], v[6:7], v[2:3]
	v_mul_f64 v[10:11], v[4:5], v[2:3]
	v_fma_f64 v[8:9], v[4:5], v[0:1], -v[8:9]
	buffer_store_dword v0, off, s[60:63], 0 ; 4-byte Folded Spill
	buffer_store_dword v1, off, s[60:63], 0 offset:4 ; 4-byte Folded Spill
	buffer_store_dword v2, off, s[60:63], 0 offset:8 ; 4-byte Folded Spill
	;; [unrolled: 1-line block ×3, first 2 shown]
	v_fma_f64 v[10:11], v[6:7], v[0:1], v[10:11]
	ds_read_b128 v[4:7], v163
	s_waitcnt lgkmcnt(0)
	v_add_f64 v[8:9], v[4:5], -v[8:9]
	v_add_f64 v[10:11], v[6:7], -v[10:11]
	v_fma_f64 v[4:5], v[4:5], 2.0, -v[8:9]
	v_fma_f64 v[6:7], v[6:7], 2.0, -v[10:11]
	ds_write_b128 v164, v[8:11] offset:272
	ds_write_b128 v164, v[4:7]
	s_waitcnt lgkmcnt(0)
	s_waitcnt_vscnt null, 0x0
	s_barrier
	buffer_gl0_inv
	s_and_saveexec_b32 s8, vcc_lo
	s_cbranch_execz .LBB0_9
; %bb.8:
	global_load_dwordx4 v[16:19], v211, s[6:7] offset:544
	s_add_u32 s4, s6, 0x220
	s_addc_u32 s5, s7, 0
	s_clause 0xf
	global_load_dwordx4 v[12:15], v211, s[4:5] offset:32
	global_load_dwordx4 v[20:23], v211, s[4:5] offset:64
	;; [unrolled: 1-line block ×16, first 2 shown]
	ds_read_b128 v[141:144], v212
	v_mov_b32_e32 v123, v111
	v_mov_b32_e32 v122, v110
	;; [unrolled: 1-line block ×47, first 2 shown]
	s_waitcnt vmcnt(16) lgkmcnt(0)
	v_mul_f64 v[145:146], v[143:144], v[18:19]
	v_mul_f64 v[18:19], v[141:142], v[18:19]
	v_fma_f64 v[141:142], v[141:142], v[16:17], -v[145:146]
	v_fma_f64 v[143:144], v[143:144], v[16:17], v[18:19]
	ds_write_b128 v212, v[141:144]
	ds_read_b128 v[16:19], v164 offset:32
	ds_read_b128 v[141:144], v164 offset:64
	ds_read_b128 v[145:148], v164 offset:96
	ds_read_b128 v[149:152], v164 offset:128
	ds_read_b128 v[153:156], v164 offset:160
	ds_read_b128 v[157:160], v164 offset:192
	ds_read_b128 v[165:168], v164 offset:224
	ds_read_b128 v[169:172], v164 offset:256
	ds_read_b128 v[173:176], v164 offset:288
	ds_read_b128 v[177:180], v164 offset:320
	ds_read_b128 v[181:184], v164 offset:352
	ds_read_b128 v[185:188], v164 offset:384
	ds_read_b128 v[189:192], v164 offset:416
	ds_read_b128 v[215:218], v164 offset:448
	ds_read_b128 v[219:222], v164 offset:480
	ds_read_b128 v[223:226], v164 offset:512
	s_waitcnt vmcnt(15) lgkmcnt(15)
	v_mul_f64 v[161:162], v[18:19], v[14:15]
	v_mul_f64 v[194:195], v[16:17], v[14:15]
	s_waitcnt vmcnt(14) lgkmcnt(14)
	v_mul_f64 v[227:228], v[143:144], v[22:23]
	v_mul_f64 v[22:23], v[141:142], v[22:23]
	;; [unrolled: 3-line block ×16, first 2 shown]
	v_fma_f64 v[14:15], v[16:17], v[12:13], -v[161:162]
	v_fma_f64 v[16:17], v[18:19], v[12:13], v[194:195]
	v_fma_f64 v[18:19], v[141:142], v[20:21], -v[227:228]
	v_fma_f64 v[20:21], v[143:144], v[20:21], v[22:23]
	v_fma_f64 v[22:23], v[145:146], v[24:25], -v[229:230]
	v_fma_f64 v[24:25], v[147:148], v[24:25], v[26:27]
	v_fma_f64 v[26:27], v[149:150], v[28:29], -v[231:232]
	v_fma_f64 v[28:29], v[151:152], v[28:29], v[30:31]
	v_fma_f64 v[30:31], v[153:154], v[32:33], -v[233:234]
	v_fma_f64 v[32:33], v[155:156], v[32:33], v[34:35]
	v_fma_f64 v[34:35], v[157:158], v[36:37], -v[235:236]
	v_fma_f64 v[36:37], v[159:160], v[36:37], v[38:39]
	v_fma_f64 v[38:39], v[165:166], v[40:41], -v[237:238]
	v_fma_f64 v[40:41], v[167:168], v[40:41], v[42:43]
	v_fma_f64 v[42:43], v[169:170], v[44:45], -v[239:240]
	v_fma_f64 v[44:45], v[171:172], v[44:45], v[46:47]
	v_fma_f64 v[46:47], v[173:174], v[48:49], -v[64:65]
	v_fma_f64 v[48:49], v[175:176], v[48:49], v[50:51]
	v_fma_f64 v[50:51], v[177:178], v[52:53], -v[243:244]
	v_fma_f64 v[52:53], v[179:180], v[52:53], v[54:55]
	v_fma_f64 v[54:55], v[181:182], v[56:57], -v[245:246]
	v_fma_f64 v[56:57], v[183:184], v[56:57], v[58:59]
	v_fma_f64 v[58:59], v[185:186], v[60:61], -v[247:248]
	v_fma_f64 v[60:61], v[187:188], v[60:61], v[62:63]
	v_mov_b32_e32 v243, v66
	v_mov_b32_e32 v64, v76
	v_fma_f64 v[139:140], v[189:190], v[68:69], -v[249:250]
	v_fma_f64 v[141:142], v[191:192], v[68:69], v[70:71]
	v_mov_b32_e32 v65, v77
	v_mov_b32_e32 v66, v78
	v_mov_b32_e32 v67, v79
	v_mov_b32_e32 v76, v88
	v_fma_f64 v[68:69], v[215:216], v[129:130], -v[251:252]
	v_fma_f64 v[70:71], v[217:218], v[129:130], v[131:132]
	v_mov_b32_e32 v77, v89
	v_mov_b32_e32 v78, v90
	;; [unrolled: 6-line block ×3, first 2 shown]
	v_mov_b32_e32 v91, v103
	v_mov_b32_e32 v100, v108
	;; [unrolled: 1-line block ×4, first 2 shown]
	v_fma_f64 v[133:134], v[223:224], v[137:138], -v[199:200]
	v_fma_f64 v[135:136], v[225:226], v[137:138], v[201:202]
	v_mov_b32_e32 v101, v109
	v_mov_b32_e32 v102, v110
	;; [unrolled: 1-line block ×21, first 2 shown]
	ds_write_b128 v164, v[14:17] offset:32
	ds_write_b128 v164, v[18:21] offset:64
	;; [unrolled: 1-line block ×16, first 2 shown]
.LBB0_9:
	s_or_b32 exec_lo, exec_lo, s8
	s_waitcnt lgkmcnt(0)
	s_barrier
	buffer_gl0_inv
	s_and_saveexec_b32 s4, vcc_lo
	s_cbranch_execz .LBB0_11
; %bb.10:
	ds_read_b128 v[4:7], v212
	ds_read_b128 v[8:11], v164 offset:32
	ds_read_b128 v[248:251], v164 offset:64
	;; [unrolled: 1-line block ×16, first 2 shown]
.LBB0_11:
	s_or_b32 exec_lo, exec_lo, s4
	s_waitcnt lgkmcnt(0)
	s_barrier
	buffer_gl0_inv
	s_and_saveexec_b32 s33, vcc_lo
	s_cbranch_execz .LBB0_13
; %bb.12:
	v_add_f64 v[46:47], v[8:9], -v[244:245]
	v_add_f64 v[131:132], v[10:11], -v[246:247]
	s_mov_b32 s8, 0xacd6c6b4
	s_mov_b32 s9, 0xbfc7851a
	v_add_f64 v[68:69], v[248:249], -v[64:65]
	v_add_f64 v[56:57], v[10:11], v[246:247]
	v_add_f64 v[70:71], v[250:251], -v[66:67]
	v_add_f64 v[58:59], v[8:9], v[244:245]
	s_mov_b32 s16, 0x4363dd80
	s_mov_b32 s10, 0x5d8e7cdc
	;; [unrolled: 1-line block ×6, first 2 shown]
	v_add_f64 v[60:61], v[76:77], -v[72:73]
	v_add_f64 v[50:51], v[250:251], v[66:67]
	v_add_f64 v[62:63], v[72:73], v[76:77]
	;; [unrolled: 1-line block ×3, first 2 shown]
	s_mov_b32 s20, 0x7c9e640b
	s_mov_b32 s28, 0x370991
	;; [unrolled: 1-line block ×4, first 2 shown]
	v_mul_f64 v[12:13], v[46:47], s[8:9]
	v_mul_f64 v[14:15], v[131:132], s[8:9]
	v_mul_f64 v[16:17], v[46:47], s[16:17]
	v_add_f64 v[149:150], v[84:85], -v[80:81]
	v_mul_f64 v[18:19], v[68:69], s[10:11]
	v_add_f64 v[137:138], v[74:75], v[78:79]
	v_mul_f64 v[20:21], v[70:71], s[10:11]
	v_add_f64 v[151:152], v[80:81], v[84:85]
	v_add_f64 v[139:140], v[78:79], -v[74:75]
	v_mul_f64 v[30:31], v[68:69], s[20:21]
	v_mul_f64 v[161:162], v[131:132], s[16:17]
	s_mov_b32 s24, 0xeb564b22
	s_mov_b32 s52, 0x2a9d6da3
	s_mov_b32 s50, 0x75d4884
	v_mul_f64 v[26:27], v[60:61], s[16:17]
	s_mov_b32 s25, 0x3fefdd0d
	v_mul_f64 v[28:29], v[62:63], s[30:31]
	s_mov_b32 s53, 0x3fe58eea
	s_mov_b32 s51, 0x3fe7a5f6
	;; [unrolled: 1-line block ×5, first 2 shown]
	v_fma_f64 v[22:23], v[56:57], s[4:5], v[12:13]
	v_fma_f64 v[24:25], v[58:59], s[4:5], -v[14:15]
	v_fma_f64 v[14:15], v[58:59], s[4:5], v[14:15]
	v_fma_f64 v[12:13], v[56:57], s[4:5], -v[12:13]
	v_fma_f64 v[32:33], v[56:57], s[30:31], v[16:17]
	v_fma_f64 v[34:35], v[50:51], s[28:29], v[18:19]
	v_fma_f64 v[135:136], v[52:53], s[28:29], -v[20:21]
	v_fma_f64 v[20:21], v[52:53], s[28:29], v[20:21]
	v_fma_f64 v[18:19], v[50:51], s[28:29], -v[18:19]
	s_mov_b32 s34, s16
	v_add_f64 v[48:49], v[88:89], -v[92:93]
	v_add_f64 v[129:130], v[82:83], v[86:87]
	v_add_f64 v[141:142], v[92:93], v[88:89]
	v_add_f64 v[133:134], v[86:87], -v[82:83]
	v_mul_f64 v[143:144], v[149:150], s[52:53]
	v_mul_f64 v[153:154], v[151:152], s[50:51]
	;; [unrolled: 1-line block ×3, first 2 shown]
	v_fma_f64 v[147:148], v[50:51], s[14:15], v[30:31]
	v_fma_f64 v[155:156], v[137:138], s[30:31], v[26:27]
	;; [unrolled: 1-line block ×4, first 2 shown]
	v_fma_f64 v[26:27], v[137:138], s[30:31], -v[26:27]
	v_add_f64 v[22:23], v[6:7], v[22:23]
	v_add_f64 v[24:25], v[4:5], v[24:25]
	;; [unrolled: 1-line block ×5, first 2 shown]
	s_mov_b32 s26, 0x3259b75e
	s_mov_b32 s22, 0x6c9a05f6
	;; [unrolled: 1-line block ×10, first 2 shown]
	v_add_f64 v[44:45], v[100:101], -v[96:97]
	v_add_f64 v[54:55], v[94:95], v[90:91]
	v_add_f64 v[157:158], v[96:97], v[100:101]
	v_add_f64 v[145:146], v[90:91], -v[94:95]
	v_fma_f64 v[167:168], v[137:138], s[26:27], v[165:166]
	v_mul_f64 v[169:170], v[141:142], s[38:39]
	v_fma_f64 v[171:172], v[129:130], s[50:51], v[143:144]
	v_add_f64 v[22:23], v[34:35], v[22:23]
	v_add_f64 v[24:25], v[135:136], v[24:25]
	v_mul_f64 v[34:35], v[70:71], s[20:21]
	v_fma_f64 v[135:136], v[58:59], s[30:31], -v[161:162]
	v_add_f64 v[14:15], v[20:21], v[14:15]
	v_add_f64 v[12:13], v[18:19], v[12:13]
	v_mul_f64 v[18:19], v[48:49], s[22:23]
	v_mul_f64 v[20:21], v[149:150], s[40:41]
	v_add_f64 v[32:33], v[147:148], v[32:33]
	v_fma_f64 v[173:174], v[133:134], s[56:57], v[153:154]
	v_mul_f64 v[175:176], v[62:63], s[26:27]
	v_fma_f64 v[179:180], v[133:134], s[52:53], v[153:154]
	v_fma_f64 v[177:178], v[129:130], s[50:51], -v[143:144]
	s_mov_b32 s37, 0xbfd71e95
	s_mov_b32 s36, s10
	v_add_f64 v[42:43], v[104:105], -v[108:109]
	v_add_f64 v[147:148], v[98:99], v[102:103]
	v_add_f64 v[153:154], v[102:103], -v[98:99]
	v_mul_f64 v[185:186], v[157:158], s[14:15]
	v_fma_f64 v[16:17], v[56:57], s[30:31], -v[16:17]
	v_fma_f64 v[189:190], v[145:146], s[40:41], v[169:170]
	v_fma_f64 v[169:170], v[145:146], s[22:23], v[169:170]
	v_add_f64 v[22:23], v[155:156], v[22:23]
	v_add_f64 v[24:25], v[159:160], v[24:25]
	v_fma_f64 v[181:182], v[52:53], s[14:15], -v[34:35]
	v_add_f64 v[183:184], v[4:5], v[135:136]
	v_add_f64 v[14:15], v[28:29], v[14:15]
	;; [unrolled: 1-line block ×4, first 2 shown]
	v_mul_f64 v[26:27], v[48:49], s[36:37]
	v_fma_f64 v[28:29], v[129:130], s[38:39], v[20:21]
	v_add_f64 v[32:33], v[167:168], v[32:33]
	v_mul_f64 v[167:168], v[44:45], s[20:21]
	v_fma_f64 v[187:188], v[54:55], s[38:39], v[18:19]
	v_fma_f64 v[18:19], v[54:55], s[38:39], -v[18:19]
	s_mov_b32 s18, 0x923c349f
	s_mov_b32 s46, 0xc61f0d01
	;; [unrolled: 1-line block ×6, first 2 shown]
	v_add_f64 v[40:41], v[112:113], -v[116:117]
	v_add_f64 v[38:39], v[110:111], v[106:107]
	v_add_f64 v[155:156], v[116:117], v[112:113]
	;; [unrolled: 1-line block ×4, first 2 shown]
	v_mul_f64 v[171:172], v[151:152], s[38:39]
	v_fma_f64 v[173:174], v[139:140], s[24:25], v[175:176]
	v_add_f64 v[181:182], v[181:182], v[183:184]
	v_add_f64 v[14:15], v[179:180], v[14:15]
	;; [unrolled: 1-line block ×3, first 2 shown]
	v_add_f64 v[143:144], v[106:107], -v[110:111]
	v_mul_f64 v[177:178], v[44:45], s[8:9]
	v_fma_f64 v[179:180], v[54:55], s[28:29], v[26:27]
	v_add_f64 v[28:29], v[28:29], v[32:33]
	v_mul_f64 v[32:33], v[42:43], s[18:19]
	v_mul_f64 v[183:184], v[159:160], s[46:47]
	v_fma_f64 v[191:192], v[147:148], s[14:15], v[167:168]
	v_fma_f64 v[194:195], v[153:154], s[44:45], v[185:186]
	v_fma_f64 v[30:31], v[50:51], s[14:15], -v[30:31]
	v_add_f64 v[16:17], v[6:7], v[16:17]
	v_fma_f64 v[185:186], v[153:154], s[20:21], v[185:186]
	v_fma_f64 v[167:168], v[147:148], s[14:15], -v[167:168]
	s_mov_b32 s55, 0x3feec746
	s_mov_b32 s54, s18
	v_add_f64 v[36:37], v[118:119], v[114:115]
	v_add_f64 v[22:23], v[187:188], v[22:23]
	;; [unrolled: 1-line block ×3, first 2 shown]
	v_mul_f64 v[187:188], v[141:142], s[28:29]
	v_fma_f64 v[189:190], v[133:134], s[22:23], v[171:172]
	v_add_f64 v[173:174], v[173:174], v[181:182]
	v_add_f64 v[14:15], v[169:170], v[14:15]
	;; [unrolled: 1-line block ×3, first 2 shown]
	v_add_f64 v[135:136], v[114:115], -v[118:119]
	v_mul_f64 v[169:170], v[42:43], s[52:53]
	v_fma_f64 v[18:19], v[147:148], s[4:5], v[177:178]
	v_add_f64 v[28:29], v[179:180], v[28:29]
	v_mul_f64 v[179:180], v[40:41], s[24:25]
	v_mul_f64 v[181:182], v[155:156], s[26:27]
	v_fma_f64 v[199:200], v[38:39], s[46:47], v[32:33]
	v_fma_f64 v[201:202], v[143:144], s[54:55], v[183:184]
	v_mul_f64 v[215:216], v[157:158], s[4:5]
	v_mul_f64 v[217:218], v[131:132], s[22:23]
	v_fma_f64 v[165:166], v[137:138], s[26:27], -v[165:166]
	v_add_f64 v[16:17], v[30:31], v[16:17]
	v_fma_f64 v[30:31], v[38:39], s[46:47], -v[32:33]
	v_fma_f64 v[32:33], v[143:144], s[18:19], v[183:184]
	v_fma_f64 v[161:162], v[58:59], s[30:31], v[161:162]
	v_add_f64 v[22:23], v[191:192], v[22:23]
	v_add_f64 v[24:25], v[194:195], v[24:25]
	v_mul_f64 v[194:195], v[46:47], s[22:23]
	v_fma_f64 v[183:184], v[145:146], s[10:11], v[187:188]
	v_add_f64 v[173:174], v[189:190], v[173:174]
	v_add_f64 v[14:15], v[185:186], v[14:15]
	;; [unrolled: 1-line block ×3, first 2 shown]
	s_mov_b32 s49, 0x3fc7851a
	s_mov_b32 s48, s8
	v_mul_f64 v[191:192], v[40:41], s[18:19]
	v_fma_f64 v[185:186], v[38:39], s[50:51], v[169:170]
	v_add_f64 v[18:19], v[18:19], v[28:29]
	v_mul_f64 v[28:29], v[159:160], s[50:51]
	v_mul_f64 v[189:190], v[68:69], s[54:55]
	v_fma_f64 v[219:220], v[36:37], s[26:27], v[179:180]
	v_fma_f64 v[221:222], v[135:136], s[42:43], v[181:182]
	v_fma_f64 v[20:21], v[129:130], s[38:39], -v[20:21]
	v_fma_f64 v[223:224], v[58:59], s[38:39], -v[217:218]
	v_add_f64 v[16:17], v[165:166], v[16:17]
	v_fma_f64 v[165:166], v[135:136], s[24:25], v[181:182]
	v_fma_f64 v[181:182], v[153:154], s[48:49], v[215:216]
	v_fma_f64 v[179:180], v[36:37], s[26:27], -v[179:180]
	v_add_f64 v[22:23], v[199:200], v[22:23]
	v_add_f64 v[24:25], v[201:202], v[24:25]
	v_mul_f64 v[199:200], v[70:71], s[54:55]
	v_fma_f64 v[201:202], v[56:57], s[38:39], v[194:195]
	v_fma_f64 v[194:195], v[56:57], s[38:39], -v[194:195]
	v_add_f64 v[173:174], v[183:184], v[173:174]
	v_add_f64 v[32:33], v[32:33], v[14:15]
	;; [unrolled: 1-line block ×3, first 2 shown]
	v_fma_f64 v[34:35], v[52:53], s[14:15], v[34:35]
	v_add_f64 v[161:162], v[4:5], v[161:162]
	v_mul_f64 v[227:228], v[46:47], s[18:19]
	v_fma_f64 v[183:184], v[36:37], s[46:47], v[191:192]
	v_add_f64 v[185:186], v[185:186], v[18:19]
	v_mul_f64 v[225:226], v[60:61], s[36:37]
	v_fma_f64 v[26:27], v[54:55], s[28:29], -v[26:27]
	v_fma_f64 v[229:230], v[50:51], s[46:47], v[189:190]
	v_fma_f64 v[189:190], v[50:51], s[46:47], -v[189:190]
	v_fma_f64 v[171:172], v[133:134], s[40:41], v[171:172]
	v_add_f64 v[20:21], v[20:21], v[16:17]
	v_mul_f64 v[167:168], v[155:156], s[46:47]
	v_mul_f64 v[231:232], v[149:150], s[44:45]
	v_add_f64 v[10:11], v[10:11], v[6:7]
	v_add_f64 v[14:15], v[219:220], v[22:23]
	;; [unrolled: 1-line block ×3, first 2 shown]
	v_fma_f64 v[24:25], v[58:59], s[38:39], v[217:218]
	v_add_f64 v[201:202], v[6:7], v[201:202]
	v_mul_f64 v[217:218], v[62:63], s[28:29]
	v_fma_f64 v[219:220], v[52:53], s[46:47], -v[199:200]
	v_add_f64 v[221:222], v[4:5], v[223:224]
	v_fma_f64 v[223:224], v[143:144], s[56:57], v[28:29]
	v_add_f64 v[194:195], v[6:7], v[194:195]
	v_add_f64 v[173:174], v[181:182], v[173:174]
	;; [unrolled: 1-line block ×3, first 2 shown]
	v_mul_f64 v[32:33], v[131:132], s[18:19]
	v_add_f64 v[18:19], v[179:180], v[30:31]
	v_fma_f64 v[30:31], v[139:140], s[42:43], v[175:176]
	v_add_f64 v[34:35], v[34:35], v[161:162]
	v_mul_f64 v[179:180], v[68:69], s[34:35]
	v_fma_f64 v[181:182], v[56:57], s[46:47], -v[227:228]
	v_add_f64 v[22:23], v[183:184], v[185:186]
	v_fma_f64 v[161:162], v[147:148], s[4:5], -v[177:178]
	v_mul_f64 v[165:166], v[149:150], s[16:17]
	v_fma_f64 v[175:176], v[137:138], s[28:29], v[225:226]
	v_fma_f64 v[177:178], v[52:53], s[46:47], v[199:200]
	v_mul_f64 v[185:186], v[151:152], s[30:31]
	v_add_f64 v[20:21], v[26:27], v[20:21]
	v_add_f64 v[24:25], v[4:5], v[24:25]
	;; [unrolled: 1-line block ×3, first 2 shown]
	v_fma_f64 v[199:200], v[139:140], s[10:11], v[217:218]
	v_fma_f64 v[217:218], v[139:140], s[36:37], v[217:218]
	v_add_f64 v[201:202], v[219:220], v[221:222]
	v_fma_f64 v[219:220], v[137:138], s[28:29], -v[225:226]
	v_add_f64 v[189:190], v[189:190], v[194:195]
	v_add_f64 v[173:174], v[223:224], v[173:174]
	v_fma_f64 v[194:195], v[56:57], s[46:47], v[227:228]
	v_mul_f64 v[221:222], v[70:71], s[34:35]
	v_fma_f64 v[223:224], v[58:59], s[46:47], -v[32:33]
	v_mul_f64 v[227:228], v[60:61], s[52:53]
	v_add_f64 v[30:31], v[30:31], v[34:35]
	v_fma_f64 v[229:230], v[50:51], s[30:31], -v[179:180]
	v_add_f64 v[181:182], v[6:7], v[181:182]
	v_fma_f64 v[34:35], v[38:39], s[50:51], -v[169:170]
	v_mul_f64 v[169:170], v[48:49], s[24:25]
	v_fma_f64 v[225:226], v[129:130], s[30:31], v[165:166]
	v_fma_f64 v[165:166], v[129:130], s[30:31], -v[165:166]
	v_fma_f64 v[179:180], v[50:51], s[30:31], v[179:180]
	v_fma_f64 v[26:27], v[135:136], s[54:55], v[167:168]
	v_add_f64 v[20:21], v[161:162], v[20:21]
	v_fma_f64 v[161:162], v[145:146], s[36:37], v[187:188]
	v_add_f64 v[175:176], v[175:176], v[183:184]
	;; [unrolled: 2-line block ×3, first 2 shown]
	v_add_f64 v[199:200], v[199:200], v[201:202]
	v_mul_f64 v[177:178], v[141:142], s[26:27]
	v_add_f64 v[187:188], v[219:220], v[189:190]
	v_fma_f64 v[185:186], v[133:134], s[16:17], v[185:186]
	v_add_f64 v[189:190], v[6:7], v[194:195]
	v_mul_f64 v[194:195], v[62:63], s[50:51]
	v_fma_f64 v[201:202], v[52:53], s[30:31], -v[221:222]
	v_add_f64 v[219:220], v[4:5], v[223:224]
	v_add_f64 v[30:31], v[171:172], v[30:31]
	v_fma_f64 v[233:234], v[137:138], s[50:51], -v[227:228]
	v_add_f64 v[181:182], v[229:230], v[181:182]
	v_fma_f64 v[171:172], v[36:37], s[46:47], -v[191:192]
	v_mul_f64 v[191:192], v[44:45], s[56:57]
	v_fma_f64 v[223:224], v[54:55], s[26:27], v[169:170]
	v_fma_f64 v[169:170], v[54:55], s[26:27], -v[169:170]
	v_fma_f64 v[28:29], v[143:144], s[52:53], v[28:29]
	v_fma_f64 v[32:33], v[58:59], s[46:47], v[32:33]
	v_add_f64 v[34:35], v[34:35], v[20:21]
	v_add_f64 v[20:21], v[26:27], v[173:174]
	;; [unrolled: 1-line block ×3, first 2 shown]
	v_fma_f64 v[167:168], v[135:136], s[18:19], v[167:168]
	v_add_f64 v[24:25], v[217:218], v[24:25]
	v_add_f64 v[183:184], v[183:184], v[199:200]
	v_fma_f64 v[199:200], v[153:154], s[8:9], v[215:216]
	v_add_f64 v[165:166], v[165:166], v[187:188]
	v_fma_f64 v[187:188], v[137:138], s[50:51], v[227:228]
	v_add_f64 v[179:180], v[179:180], v[189:190]
	v_mul_f64 v[189:190], v[151:152], s[14:15]
	v_fma_f64 v[215:216], v[139:140], s[56:57], v[194:195]
	v_add_f64 v[201:202], v[201:202], v[219:220]
	v_mul_f64 v[217:218], v[157:158], s[50:51]
	;; [unrolled: 3-line block ×3, first 2 shown]
	v_fma_f64 v[227:228], v[129:130], s[14:15], -v[231:232]
	v_add_f64 v[181:182], v[233:234], v[181:182]
	v_mul_f64 v[161:162], v[42:43], s[8:9]
	v_fma_f64 v[173:174], v[147:148], s[50:51], v[191:192]
	v_fma_f64 v[177:178], v[145:146], s[24:25], v[177:178]
	v_add_f64 v[26:27], v[171:172], v[34:35]
	v_fma_f64 v[34:35], v[147:148], s[50:51], -v[191:192]
	v_add_f64 v[175:176], v[223:224], v[175:176]
	v_add_f64 v[32:33], v[4:5], v[32:33]
	;; [unrolled: 1-line block ×3, first 2 shown]
	v_mul_f64 v[185:186], v[159:160], s[4:5]
	v_mul_f64 v[229:230], v[70:71], s[8:9]
	v_add_f64 v[165:166], v[169:170], v[165:166]
	v_fma_f64 v[169:170], v[129:130], s[14:15], v[231:232]
	v_add_f64 v[171:172], v[187:188], v[179:180]
	v_mul_f64 v[179:180], v[141:142], s[4:5]
	v_fma_f64 v[187:188], v[133:134], s[20:21], v[189:190]
	v_add_f64 v[191:192], v[215:216], v[201:202]
	v_fma_f64 v[223:224], v[153:154], s[52:53], v[217:218]
	v_add_f64 v[183:184], v[225:226], v[183:184]
	v_add_f64 v[30:31], v[199:200], v[30:31]
	v_fma_f64 v[215:216], v[153:154], s[56:57], v[217:218]
	v_mul_f64 v[217:218], v[44:45], s[24:25]
	v_fma_f64 v[225:226], v[54:55], s[4:5], -v[219:220]
	v_add_f64 v[181:182], v[227:228], v[181:182]
	v_fma_f64 v[201:202], v[38:39], s[4:5], v[161:162]
	v_fma_f64 v[161:162], v[38:39], s[4:5], -v[161:162]
	v_mul_f64 v[199:200], v[40:41], s[20:21]
	v_fma_f64 v[194:195], v[139:140], s[52:53], v[194:195]
	v_add_f64 v[173:174], v[173:174], v[175:176]
	v_mul_f64 v[175:176], v[155:156], s[14:15]
	v_add_f64 v[24:25], v[177:178], v[24:25]
	v_fma_f64 v[177:178], v[143:144], s[48:49], v[185:186]
	v_fma_f64 v[189:190], v[133:134], s[44:45], v[189:190]
	v_add_f64 v[34:35], v[34:35], v[165:166]
	v_fma_f64 v[165:166], v[54:55], s[4:5], v[219:220]
	v_add_f64 v[169:170], v[169:170], v[171:172]
	v_fma_f64 v[219:220], v[145:146], s[48:49], v[179:180]
	v_mul_f64 v[171:172], v[157:158], s[26:27]
	v_add_f64 v[187:188], v[187:188], v[191:192]
	v_fma_f64 v[191:192], v[52:53], s[30:31], v[221:222]
	v_add_f64 v[183:184], v[223:224], v[183:184]
	v_mul_f64 v[223:224], v[46:47], s[42:43]
	v_add_f64 v[28:29], v[28:29], v[30:31]
	v_fma_f64 v[30:31], v[143:144], s[8:9], v[185:186]
	v_mul_f64 v[185:186], v[42:43], s[36:37]
	v_mul_f64 v[221:222], v[131:132], s[42:43]
	v_fma_f64 v[227:228], v[147:148], s[26:27], -v[217:218]
	v_add_f64 v[181:182], v[225:226], v[181:182]
	v_mov_b32_e32 v0, v116
	v_mov_b32_e32 v1, v117
	v_add_f64 v[173:174], v[201:202], v[173:174]
	v_fma_f64 v[201:202], v[135:136], s[44:45], v[175:176]
	v_add_f64 v[24:25], v[215:216], v[24:25]
	v_fma_f64 v[215:216], v[36:37], s[14:15], v[199:200]
	v_fma_f64 v[199:200], v[36:37], s[14:15], -v[199:200]
	v_add_f64 v[34:35], v[161:162], v[34:35]
	v_fma_f64 v[161:162], v[147:148], s[26:27], v[217:218]
	v_add_f64 v[165:166], v[165:166], v[169:170]
	v_mul_f64 v[169:170], v[159:160], s[28:29]
	v_fma_f64 v[217:218], v[153:154], s[42:43], v[171:172]
	v_add_f64 v[187:188], v[219:220], v[187:188]
	v_mul_f64 v[219:220], v[40:41], s[22:23]
	v_add_f64 v[177:178], v[177:178], v[183:184]
	v_mul_f64 v[183:184], v[68:69], s[8:9]
	v_fma_f64 v[225:226], v[56:57], s[26:27], v[223:224]
	v_add_f64 v[32:33], v[191:192], v[32:33]
	v_fma_f64 v[191:192], v[38:39], s[28:29], -v[185:186]
	v_fma_f64 v[231:232], v[58:59], s[26:27], -v[221:222]
	v_fma_f64 v[175:176], v[135:136], s[20:21], v[175:176]
	v_add_f64 v[181:182], v[227:228], v[181:182]
	v_mov_b32_e32 v2, v118
	v_mov_b32_e32 v3, v119
	;; [unrolled: 1-line block ×4, first 2 shown]
	v_add_f64 v[227:228], v[30:31], v[24:25]
	v_add_f64 v[24:25], v[167:168], v[28:29]
	;; [unrolled: 1-line block ×3, first 2 shown]
	v_mul_f64 v[167:168], v[60:61], s[54:55]
	v_fma_f64 v[173:174], v[56:57], s[26:27], -v[223:224]
	v_add_f64 v[165:166], v[161:162], v[165:166]
	v_add_f64 v[34:35], v[199:200], v[34:35]
	v_fma_f64 v[199:200], v[143:144], s[10:11], v[169:170]
	v_add_f64 v[187:188], v[217:218], v[187:188]
	v_fma_f64 v[233:234], v[36:37], s[38:39], -v[219:220]
	v_fma_f64 v[161:162], v[36:37], s[38:39], v[219:220]
	v_add_f64 v[219:220], v[8:9], v[4:5]
	v_fma_f64 v[215:216], v[50:51], s[4:5], v[183:184]
	v_add_f64 v[223:224], v[6:7], v[225:226]
	v_add_f64 v[28:29], v[201:202], v[177:178]
	v_fma_f64 v[177:178], v[38:39], s[28:29], v[185:186]
	v_mul_f64 v[201:202], v[62:63], s[46:47]
	v_fma_f64 v[217:218], v[52:53], s[4:5], -v[229:230]
	v_mul_f64 v[225:226], v[46:47], s[44:45]
	v_add_f64 v[231:232], v[4:5], v[231:232]
	v_add_f64 v[194:195], v[194:195], v[32:33]
	;; [unrolled: 1-line block ×3, first 2 shown]
	v_mul_f64 v[191:192], v[131:132], s[44:45]
	v_mov_b32_e32 v117, v109
	v_mov_b32_e32 v116, v108
	;; [unrolled: 1-line block ×15, first 2 shown]
	v_add_f64 v[10:11], v[250:251], v[10:11]
	v_mov_b32_e32 v82, v78
	v_mov_b32_e32 v81, v77
	;; [unrolled: 1-line block ×3, first 2 shown]
	v_add_f64 v[76:77], v[248:249], v[219:220]
	v_add_f64 v[32:33], v[175:176], v[227:228]
	v_mul_f64 v[175:176], v[149:150], s[10:11]
	v_fma_f64 v[183:184], v[50:51], s[4:5], -v[183:184]
	v_add_f64 v[173:174], v[6:7], v[173:174]
	v_fma_f64 v[227:228], v[137:138], s[46:47], v[167:168]
	v_add_f64 v[215:216], v[215:216], v[223:224]
	v_add_f64 v[165:166], v[177:178], v[165:166]
	v_mul_f64 v[177:178], v[151:152], s[28:29]
	v_fma_f64 v[221:222], v[58:59], s[26:27], v[221:222]
	v_fma_f64 v[235:236], v[139:140], s[18:19], v[201:202]
	v_mul_f64 v[237:238], v[68:69], s[22:23]
	v_fma_f64 v[239:240], v[56:57], s[14:15], v[225:226]
	v_add_f64 v[217:218], v[217:218], v[231:232]
	v_add_f64 v[189:190], v[189:190], v[194:195]
	;; [unrolled: 1-line block ×3, first 2 shown]
	v_mul_f64 v[194:195], v[70:71], s[22:23]
	v_fma_f64 v[199:200], v[58:59], s[14:15], -v[191:192]
	v_add_f64 v[10:11], v[82:83], v[10:11]
	v_fma_f64 v[179:180], v[145:146], s[8:9], v[179:180]
	v_add_f64 v[8:9], v[233:234], v[181:182]
	v_mul_f64 v[181:182], v[48:49], s[44:45]
	v_add_f64 v[76:77], v[80:81], v[76:77]
	v_fma_f64 v[167:168], v[137:138], s[46:47], -v[167:168]
	v_mul_f64 v[78:79], v[141:142], s[14:15]
	v_fma_f64 v[225:226], v[56:57], s[14:15], -v[225:226]
	v_add_f64 v[173:174], v[183:184], v[173:174]
	v_fma_f64 v[183:184], v[129:130], s[28:29], v[175:176]
	v_add_f64 v[215:216], v[227:228], v[215:216]
	v_fma_f64 v[227:228], v[52:53], s[4:5], v[229:230]
	v_fma_f64 v[219:220], v[133:134], s[36:37], v[177:178]
	v_add_f64 v[221:222], v[4:5], v[221:222]
	v_mul_f64 v[229:230], v[60:61], s[48:49]
	v_fma_f64 v[231:232], v[50:51], s[38:39], v[237:238]
	v_add_f64 v[233:234], v[6:7], v[239:240]
	v_add_f64 v[217:218], v[235:236], v[217:218]
	v_mul_f64 v[235:236], v[62:63], s[4:5]
	v_mov_b32_e32 v80, v84
	v_fma_f64 v[239:240], v[52:53], s[38:39], -v[194:195]
	v_add_f64 v[199:200], v[4:5], v[199:200]
	v_mov_b32_e32 v81, v85
	v_mov_b32_e32 v82, v86
	;; [unrolled: 1-line block ×3, first 2 shown]
	v_fma_f64 v[171:172], v[153:154], s[24:25], v[171:172]
	v_add_f64 v[179:180], v[179:180], v[189:190]
	v_add_f64 v[76:77], v[80:81], v[76:77]
	v_mul_f64 v[189:190], v[44:45], s[16:17]
	v_add_f64 v[10:11], v[82:83], v[10:11]
	v_fma_f64 v[175:176], v[129:130], s[28:29], -v[175:176]
	v_add_f64 v[167:168], v[167:168], v[173:174]
	v_fma_f64 v[173:174], v[54:55], s[14:15], v[181:182]
	v_add_f64 v[183:184], v[183:184], v[215:216]
	v_mul_f64 v[215:216], v[157:158], s[30:31]
	v_fma_f64 v[84:85], v[145:146], s[20:21], v[78:79]
	v_fma_f64 v[86:87], v[50:51], s[38:39], -v[237:238]
	v_add_f64 v[225:226], v[6:7], v[225:226]
	v_fma_f64 v[201:202], v[139:140], s[54:55], v[201:202]
	v_add_f64 v[221:222], v[227:228], v[221:222]
	v_mul_f64 v[227:228], v[149:150], s[54:55]
	v_fma_f64 v[237:238], v[137:138], s[4:5], v[229:230]
	v_add_f64 v[231:232], v[231:232], v[233:234]
	v_add_f64 v[217:218], v[219:220], v[217:218]
	v_fma_f64 v[191:192], v[58:59], s[14:15], v[191:192]
	v_mul_f64 v[219:220], v[151:152], s[46:47]
	v_fma_f64 v[233:234], v[139:140], s[8:9], v[235:236]
	v_add_f64 v[199:200], v[239:240], v[199:200]
	v_mov_b32_e32 v80, v92
	v_add_f64 v[76:77], v[96:97], v[76:77]
	v_mul_f64 v[185:186], v[155:156], s[38:39]
	v_add_f64 v[10:11], v[98:99], v[10:11]
	v_add_f64 v[171:172], v[171:172], v[179:180]
	v_mul_f64 v[179:180], v[42:43], s[40:41]
	v_fma_f64 v[181:182], v[54:55], s[14:15], -v[181:182]
	v_add_f64 v[167:168], v[175:176], v[167:168]
	v_fma_f64 v[175:176], v[147:148], s[30:31], v[189:190]
	v_add_f64 v[173:174], v[173:174], v[183:184]
	v_mul_f64 v[183:184], v[159:160], s[38:39]
	v_mov_b32_e32 v81, v93
	v_mov_b32_e32 v82, v94
	v_mov_b32_e32 v83, v95
	v_fma_f64 v[92:93], v[153:154], s[34:35], v[215:216]
	v_fma_f64 v[94:95], v[137:138], s[4:5], -v[229:230]
	v_add_f64 v[86:87], v[86:87], v[225:226]
	v_fma_f64 v[177:178], v[133:134], s[10:11], v[177:178]
	v_add_f64 v[201:202], v[201:202], v[221:222]
	v_mul_f64 v[221:222], v[48:49], s[52:53]
	v_fma_f64 v[225:226], v[129:130], s[46:47], v[227:228]
	v_add_f64 v[229:230], v[237:238], v[231:232]
	v_add_f64 v[84:85], v[84:85], v[217:218]
	v_fma_f64 v[194:195], v[52:53], s[38:39], v[194:195]
	v_add_f64 v[191:192], v[4:5], v[191:192]
	v_mul_f64 v[231:232], v[141:142], s[50:51]
	v_fma_f64 v[237:238], v[133:134], s[18:19], v[219:220]
	v_add_f64 v[199:200], v[233:234], v[199:200]
	v_add_f64 v[10:11], v[102:103], v[10:11]
	;; [unrolled: 1-line block ×3, first 2 shown]
	v_fma_f64 v[223:224], v[135:136], s[40:41], v[185:186]
	v_fma_f64 v[169:170], v[143:144], s[36:37], v[169:170]
	v_mul_f64 v[217:218], v[40:41], s[52:53]
	v_fma_f64 v[189:190], v[147:148], s[30:31], -v[189:190]
	v_add_f64 v[167:168], v[181:182], v[167:168]
	v_fma_f64 v[181:182], v[38:39], s[38:39], v[179:180]
	v_add_f64 v[173:174], v[175:176], v[173:174]
	v_fma_f64 v[96:97], v[143:144], s[22:23], v[183:184]
	v_fma_f64 v[98:99], v[129:130], s[46:47], -v[227:228]
	v_add_f64 v[86:87], v[94:95], v[86:87]
	v_add_f64 v[94:95], v[177:178], v[201:202]
	v_mul_f64 v[177:178], v[44:45], s[36:37]
	v_fma_f64 v[201:202], v[54:55], s[50:51], v[221:222]
	v_add_f64 v[225:226], v[225:226], v[229:230]
	v_add_f64 v[84:85], v[92:93], v[84:85]
	v_fma_f64 v[92:93], v[135:136], s[22:23], v[185:186]
	v_fma_f64 v[185:186], v[139:140], s[48:49], v[235:236]
	v_add_f64 v[191:192], v[194:195], v[191:192]
	v_mul_f64 v[194:195], v[157:158], s[28:29]
	v_fma_f64 v[227:228], v[145:146], s[56:57], v[231:232]
	v_add_f64 v[199:200], v[237:238], v[199:200]
	v_mov_b32_e32 v100, v104
	v_mov_b32_e32 v101, v105
	;; [unrolled: 1-line block ×4, first 2 shown]
	v_fma_f64 v[179:180], v[38:39], s[38:39], -v[179:180]
	v_add_f64 v[167:168], v[189:190], v[167:168]
	v_add_f64 v[76:77], v[100:101], v[76:77]
	;; [unrolled: 1-line block ×4, first 2 shown]
	v_mov_b32_e32 v100, v112
	v_fma_f64 v[171:172], v[36:37], s[50:51], v[217:218]
	v_add_f64 v[173:174], v[181:182], v[173:174]
	v_fma_f64 v[106:107], v[54:55], s[50:51], -v[221:222]
	v_add_f64 v[86:87], v[98:99], v[86:87]
	v_fma_f64 v[181:182], v[147:148], s[28:29], v[177:178]
	v_add_f64 v[189:190], v[201:202], v[225:226]
	v_add_f64 v[84:85], v[96:97], v[84:85]
	v_mul_f64 v[96:97], v[46:47], s[56:57]
	v_fma_f64 v[201:202], v[133:134], s[54:55], v[219:220]
	v_add_f64 v[185:186], v[185:186], v[191:192]
	v_fma_f64 v[191:192], v[36:37], s[50:51], -v[217:218]
	v_fma_f64 v[217:218], v[153:154], s[10:11], v[194:195]
	v_add_f64 v[199:200], v[227:228], v[199:200]
	v_mul_f64 v[46:47], v[46:47], s[36:37]
	v_mov_b32_e32 v101, v113
	v_mov_b32_e32 v102, v114
	;; [unrolled: 1-line block ×3, first 2 shown]
	v_mul_f64 v[112:113], v[131:132], s[36:37]
	v_mul_f64 v[114:115], v[131:132], s[56:57]
	v_add_f64 v[76:77], v[100:101], v[76:77]
	v_fma_f64 v[98:99], v[153:154], s[16:17], v[215:216]
	v_add_f64 v[10:11], v[102:103], v[10:11]
	v_mul_f64 v[215:216], v[159:160], s[26:27]
	v_add_f64 v[167:168], v[179:180], v[167:168]
	v_fma_f64 v[177:178], v[147:148], s[28:29], -v[177:178]
	v_add_f64 v[86:87], v[106:107], v[86:87]
	v_fma_f64 v[106:107], v[143:144], s[40:41], v[183:184]
	v_add_f64 v[179:180], v[181:182], v[189:190]
	v_mul_f64 v[181:182], v[68:69], s[42:43]
	v_mul_f64 v[68:69], v[68:69], s[56:57]
	v_fma_f64 v[183:184], v[56:57], s[50:51], -v[96:97]
	v_add_f64 v[185:186], v[201:202], v[185:186]
	v_mul_f64 v[201:202], v[70:71], s[42:43]
	v_mul_f64 v[70:71], v[70:71], s[56:57]
	v_add_f64 v[199:200], v[217:218], v[199:200]
	v_fma_f64 v[217:218], v[56:57], s[28:29], -v[46:47]
	v_fma_f64 v[189:190], v[145:146], s[52:53], v[231:232]
	v_fma_f64 v[96:97], v[56:57], s[50:51], v[96:97]
	;; [unrolled: 1-line block ×5, first 2 shown]
	v_fma_f64 v[114:115], v[58:59], s[50:51], -v[114:115]
	v_fma_f64 v[58:59], v[58:59], s[28:29], -v[112:113]
	v_add_f64 v[10:11], v[2:3], v[10:11]
	v_add_f64 v[76:77], v[0:1], v[76:77]
	v_fma_f64 v[221:222], v[143:144], s[24:25], v[215:216]
	v_mul_f64 v[227:228], v[62:63], s[38:39]
	v_add_f64 v[86:87], v[177:178], v[86:87]
	v_fma_f64 v[177:178], v[143:144], s[42:43], v[215:216]
	v_mul_f64 v[215:216], v[60:61], s[22:23]
	v_mul_f64 v[56:57], v[60:61], s[44:45]
	;; [unrolled: 1-line block ×3, first 2 shown]
	v_fma_f64 v[62:63], v[50:51], s[50:51], -v[68:69]
	v_fma_f64 v[225:226], v[50:51], s[26:27], -v[181:182]
	v_add_f64 v[183:184], v[6:7], v[183:184]
	v_fma_f64 v[126:127], v[50:51], s[26:27], v[181:182]
	v_fma_f64 v[50:51], v[50:51], s[50:51], v[68:69]
	v_add_f64 v[112:113], v[6:7], v[217:218]
	v_fma_f64 v[217:218], v[52:53], s[50:51], v[70:71]
	v_add_f64 v[185:186], v[189:190], v[185:186]
	;; [unrolled: 2-line block ×3, first 2 shown]
	v_add_f64 v[122:123], v[4:5], v[122:123]
	v_add_f64 v[96:97], v[6:7], v[96:97]
	v_fma_f64 v[201:202], v[52:53], s[26:27], -v[201:202]
	v_add_f64 v[114:115], v[4:5], v[114:115]
	v_add_f64 v[6:7], v[6:7], v[46:47]
	v_fma_f64 v[46:47], v[52:53], s[50:51], -v[70:71]
	v_add_f64 v[4:5], v[4:5], v[58:59]
	v_add_f64 v[10:11], v[118:119], v[10:11]
	;; [unrolled: 1-line block ×3, first 2 shown]
	v_mul_f64 v[124:125], v[149:150], s[8:9]
	v_mul_f64 v[149:150], v[149:150], s[42:43]
	;; [unrolled: 1-line block ×3, first 2 shown]
	v_fma_f64 v[58:59], v[137:138], s[14:15], -v[56:57]
	v_fma_f64 v[68:69], v[139:140], s[44:45], v[60:61]
	v_mul_f64 v[181:182], v[151:152], s[4:5]
	v_fma_f64 v[229:230], v[137:138], s[38:39], -v[215:216]
	v_add_f64 v[183:184], v[225:226], v[183:184]
	v_add_f64 v[62:63], v[62:63], v[112:113]
	v_fma_f64 v[225:226], v[139:140], s[22:23], v[227:228]
	v_fma_f64 v[118:119], v[137:138], s[38:39], v[215:216]
	v_fma_f64 v[56:57], v[137:138], s[14:15], v[56:57]
	v_add_f64 v[76:77], v[217:218], v[120:121]
	v_add_f64 v[112:113], v[189:190], v[122:123]
	;; [unrolled: 1-line block ×3, first 2 shown]
	v_fma_f64 v[122:123], v[139:140], s[40:41], v[227:228]
	v_add_f64 v[114:115], v[201:202], v[114:115]
	v_add_f64 v[6:7], v[50:51], v[6:7]
	v_fma_f64 v[50:51], v[139:140], s[20:21], v[60:61]
	v_add_f64 v[4:5], v[46:47], v[4:5]
	v_add_f64 v[10:11], v[110:111], v[10:11]
	;; [unrolled: 1-line block ×3, first 2 shown]
	v_mul_f64 v[116:117], v[48:49], s[34:35]
	v_mul_f64 v[48:49], v[48:49], s[18:19]
	;; [unrolled: 1-line block ×3, first 2 shown]
	v_fma_f64 v[60:61], v[129:130], s[26:27], -v[149:150]
	v_mul_f64 v[120:121], v[141:142], s[30:31]
	v_fma_f64 v[126:127], v[129:130], s[4:5], -v[124:125]
	v_fma_f64 v[78:79], v[145:146], s[44:45], v[78:79]
	v_add_f64 v[151:152], v[229:230], v[183:184]
	v_add_f64 v[58:59], v[58:59], v[62:63]
	v_fma_f64 v[62:63], v[133:134], s[42:43], v[52:53]
	v_fma_f64 v[183:184], v[133:134], s[8:9], v[181:182]
	;; [unrolled: 1-line block ×3, first 2 shown]
	v_add_f64 v[68:69], v[68:69], v[76:77]
	v_add_f64 v[76:77], v[225:226], v[112:113]
	;; [unrolled: 1-line block ×3, first 2 shown]
	v_fma_f64 v[118:119], v[133:134], s[48:49], v[181:182]
	v_add_f64 v[114:115], v[122:123], v[114:115]
	v_fma_f64 v[129:130], v[129:130], s[26:27], v[149:150]
	v_add_f64 v[6:7], v[56:57], v[6:7]
	;; [unrolled: 2-line block ×3, first 2 shown]
	v_add_f64 v[10:11], v[82:83], v[10:11]
	v_add_f64 v[70:71], v[80:81], v[70:71]
	v_mul_f64 v[108:109], v[44:45], s[54:55]
	v_mul_f64 v[44:45], v[44:45], s[22:23]
	;; [unrolled: 1-line block ×3, first 2 shown]
	v_fma_f64 v[56:57], v[54:55], s[46:47], -v[48:49]
	v_mul_f64 v[112:113], v[157:158], s[46:47]
	v_fma_f64 v[122:123], v[54:55], s[30:31], -v[116:117]
	v_add_f64 v[124:125], v[126:127], v[151:152]
	v_add_f64 v[58:59], v[60:61], v[58:59]
	v_fma_f64 v[60:61], v[145:146], s[18:19], v[46:47]
	v_fma_f64 v[126:127], v[145:146], s[34:35], v[120:121]
	v_add_f64 v[78:79], v[78:79], v[94:95]
	v_add_f64 v[62:63], v[62:63], v[68:69]
	;; [unrolled: 1-line block ×3, first 2 shown]
	v_mul_f64 v[94:95], v[42:43], s[42:43]
	v_fma_f64 v[100:101], v[54:55], s[30:31], v[116:117]
	v_add_f64 v[96:97], v[110:111], v[96:97]
	v_fma_f64 v[110:111], v[145:146], s[16:17], v[120:121]
	v_add_f64 v[114:115], v[118:119], v[114:115]
	v_fma_f64 v[48:49], v[54:55], s[46:47], v[48:49]
	v_add_f64 v[6:7], v[129:130], v[6:7]
	v_fma_f64 v[46:47], v[145:146], s[54:55], v[46:47]
	v_add_f64 v[4:5], v[52:53], v[4:5]
	v_add_f64 v[10:11], v[90:91], v[10:11]
	v_add_f64 v[70:71], v[88:89], v[70:71]
	v_mul_f64 v[76:77], v[42:43], s[20:21]
	v_mul_f64 v[42:43], v[42:43], s[16:17]
	;; [unrolled: 1-line block ×3, first 2 shown]
	v_fma_f64 v[54:55], v[147:148], s[38:39], -v[44:45]
	v_mul_f64 v[102:103], v[159:160], s[14:15]
	v_add_f64 v[56:57], v[56:57], v[58:59]
	v_fma_f64 v[58:59], v[153:154], s[22:23], v[50:51]
	v_fma_f64 v[116:117], v[147:148], s[46:47], -v[108:109]
	v_add_f64 v[118:119], v[122:123], v[124:125]
	v_add_f64 v[60:61], v[60:61], v[62:63]
	v_fma_f64 v[120:121], v[153:154], s[54:55], v[112:113]
	v_add_f64 v[62:63], v[126:127], v[68:69]
	v_fma_f64 v[194:195], v[153:154], s[36:37], v[194:195]
	v_fma_f64 v[131:132], v[38:39], s[26:27], v[94:95]
	v_fma_f64 v[94:95], v[38:39], s[26:27], -v[94:95]
	v_fma_f64 v[88:89], v[147:148], s[46:47], v[108:109]
	v_add_f64 v[90:91], v[100:101], v[96:97]
	v_fma_f64 v[100:101], v[153:154], s[18:19], v[112:113]
	v_add_f64 v[108:109], v[110:111], v[114:115]
	;; [unrolled: 2-line block ×4, first 2 shown]
	v_add_f64 v[10:11], v[74:75], v[10:11]
	v_add_f64 v[70:71], v[72:73], v[70:71]
	;; [unrolled: 1-line block ×3, first 2 shown]
	v_mul_f64 v[98:99], v[40:41], s[16:17]
	v_mul_f64 v[68:69], v[40:41], s[10:11]
	;; [unrolled: 1-line block ×4, first 2 shown]
	v_fma_f64 v[50:51], v[38:39], s[30:31], -v[42:43]
	v_add_f64 v[54:55], v[54:55], v[56:57]
	v_fma_f64 v[56:57], v[143:144], s[16:17], v[52:53]
	v_add_f64 v[58:59], v[58:59], v[60:61]
	v_mul_f64 v[96:97], v[155:156], s[28:29]
	v_fma_f64 v[110:111], v[38:39], s[14:15], -v[76:77]
	v_add_f64 v[112:113], v[116:117], v[118:119]
	v_fma_f64 v[114:115], v[143:144], s[20:21], v[102:103]
	v_add_f64 v[60:61], v[120:121], v[62:63]
	v_mul_f64 v[219:220], v[155:156], s[30:31]
	v_add_f64 v[62:63], v[194:195], v[185:186]
	v_mul_f64 v[175:176], v[155:156], s[50:51]
	v_add_f64 v[82:83], v[94:95], v[86:87]
	v_fma_f64 v[76:77], v[38:39], s[14:15], v[76:77]
	v_add_f64 v[88:89], v[88:89], v[90:91]
	v_fma_f64 v[90:91], v[143:144], s[44:45], v[102:103]
	;; [unrolled: 2-line block ×4, first 2 shown]
	v_add_f64 v[4:5], v[48:49], v[4:5]
	v_add_f64 v[10:11], v[66:67], v[10:11]
	;; [unrolled: 1-line block ×3, first 2 shown]
	v_fma_f64 v[48:49], v[36:37], s[4:5], -v[40:41]
	v_add_f64 v[50:51], v[50:51], v[54:55]
	v_fma_f64 v[108:109], v[135:136], s[8:9], v[46:47]
	v_add_f64 v[56:57], v[56:57], v[58:59]
	v_fma_f64 v[100:101], v[36:37], s[28:29], -v[68:69]
	v_add_f64 v[102:103], v[110:111], v[112:113]
	v_fma_f64 v[44:45], v[135:136], s[10:11], v[96:97]
	v_add_f64 v[58:59], v[114:115], v[60:61]
	v_fma_f64 v[80:81], v[36:37], s[30:31], -v[98:99]
	v_fma_f64 v[86:87], v[135:136], s[16:17], v[219:220]
	v_add_f64 v[60:61], v[177:178], v[62:63]
	v_fma_f64 v[104:105], v[135:136], s[56:57], v[175:176]
	v_fma_f64 v[175:176], v[135:136], s[52:53], v[175:176]
	v_add_f64 v[62:63], v[106:107], v[78:79]
	v_fma_f64 v[70:71], v[36:37], s[30:31], v[98:99]
	v_add_f64 v[72:73], v[131:132], v[179:180]
	;; [unrolled: 2-line block ×7, first 2 shown]
	v_add_f64 v[54:55], v[246:247], v[10:11]
	v_add_f64 v[52:53], v[244:245], v[52:53]
	;; [unrolled: 1-line block ×13, first 2 shown]
	v_and_b32_e32 v10, 0xffff, v193
	v_add_f64 v[62:63], v[171:172], v[173:174]
	v_add_f64 v[60:61], v[104:105], v[84:85]
	;; [unrolled: 1-line block ×8, first 2 shown]
	v_lshl_add_u32 v4, v10, 4, v243
	ds_write_b128 v4, v[52:55]
	ds_write_b128 v4, v[48:51] offset:16
	ds_write_b128 v4, v[44:47] offset:32
	;; [unrolled: 1-line block ×16, first 2 shown]
.LBB0_13:
	s_or_b32 exec_lo, exec_lo, s33
	s_waitcnt lgkmcnt(0)
	s_barrier
	buffer_gl0_inv
	ds_read_b128 v[4:7], v163 offset:272
	s_clause 0x3
	buffer_load_dword v0, off, s[60:63], 0
	buffer_load_dword v1, off, s[60:63], 0 offset:4
	buffer_load_dword v2, off, s[60:63], 0 offset:8
	;; [unrolled: 1-line block ×3, first 2 shown]
	s_waitcnt vmcnt(0) lgkmcnt(0)
	v_mul_f64 v[8:9], v[2:3], v[6:7]
	v_mul_f64 v[2:3], v[2:3], v[4:5]
	v_fma_f64 v[4:5], v[0:1], v[4:5], v[8:9]
	v_fma_f64 v[6:7], v[0:1], v[6:7], -v[2:3]
	ds_read_b128 v[0:3], v163
	s_waitcnt lgkmcnt(0)
	v_add_f64 v[4:5], v[0:1], -v[4:5]
	v_add_f64 v[6:7], v[2:3], -v[6:7]
	v_fma_f64 v[0:1], v[0:1], 2.0, -v[4:5]
	v_fma_f64 v[2:3], v[2:3], 2.0, -v[6:7]
	ds_write_b128 v164, v[4:7] offset:272
	ds_write_b128 v164, v[0:3]
	s_waitcnt lgkmcnt(0)
	s_barrier
	buffer_gl0_inv
	s_and_b32 exec_lo, exec_lo, vcc_lo
	s_cbranch_execz .LBB0_15
; %bb.14:
	global_load_dwordx4 v[0:3], v211, s[6:7]
	ds_read_b128 v[4:7], v212
	v_mad_u64_u32 v[10:11], null, s2, v128, 0
	s_waitcnt vmcnt(0) lgkmcnt(0)
	v_mul_f64 v[8:9], v[6:7], v[2:3]
	v_mul_f64 v[2:3], v[4:5], v[2:3]
	v_fma_f64 v[4:5], v[4:5], v[0:1], v[8:9]
	v_fma_f64 v[0:1], v[0:1], v[6:7], -v[2:3]
	v_mad_u64_u32 v[6:7], null, s0, v255, 0
	v_mov_b32_e32 v2, v11
	v_mov_b32_e32 v3, v7
	v_mad_u64_u32 v[7:8], null, s3, v128, v[2:3]
	s_mov_b32 s2, 0x1e1e1e1e
	s_mov_b32 s3, 0x3f9e1e1e
	v_mad_u64_u32 v[8:9], null, s1, v255, v[3:4]
	v_mov_b32_e32 v11, v7
	v_mul_f64 v[2:3], v[4:5], s[2:3]
	v_mul_f64 v[4:5], v[0:1], s[2:3]
	v_lshlrev_b64 v[0:1], 4, v[10:11]
	v_mov_b32_e32 v7, v8
	v_add_co_u32 v0, vcc_lo, s12, v0
	v_lshlrev_b64 v[6:7], 4, v[6:7]
	v_add_co_ci_u32_e32 v1, vcc_lo, s13, v1, vcc_lo
	v_add_co_u32 v6, vcc_lo, v0, v6
	v_add_co_ci_u32_e32 v7, vcc_lo, v1, v7, vcc_lo
	global_store_dwordx4 v[6:7], v[2:5], off
	global_load_dwordx4 v[3:6], v211, s[6:7] offset:32
	v_lshl_add_u32 v2, v198, 4, v211
	ds_read_b128 v[7:10], v2 offset:32
	ds_read_b128 v[11:14], v2 offset:64
	s_waitcnt vmcnt(0) lgkmcnt(1)
	v_mul_f64 v[15:16], v[9:10], v[5:6]
	v_mul_f64 v[5:6], v[7:8], v[5:6]
	v_fma_f64 v[7:8], v[7:8], v[3:4], v[15:16]
	v_fma_f64 v[5:6], v[3:4], v[9:10], -v[5:6]
	v_mad_u64_u32 v[9:10], null, s0, v197, 0
	v_mov_b32_e32 v3, v10
	v_mad_u64_u32 v[15:16], null, s1, v197, v[3:4]
	v_mul_f64 v[3:4], v[7:8], s[2:3]
	v_mul_f64 v[5:6], v[5:6], s[2:3]
	v_mov_b32_e32 v10, v15
	v_lshlrev_b64 v[7:8], 4, v[9:10]
	v_mad_u64_u32 v[9:10], null, s0, v214, 0
	v_add_co_u32 v7, vcc_lo, v0, v7
	v_add_co_ci_u32_e32 v8, vcc_lo, v1, v8, vcc_lo
	global_store_dwordx4 v[7:8], v[3:6], off
	global_load_dwordx4 v[3:6], v211, s[6:7] offset:64
	s_waitcnt vmcnt(0) lgkmcnt(0)
	v_mul_f64 v[7:8], v[13:14], v[5:6]
	v_mul_f64 v[5:6], v[11:12], v[5:6]
	v_fma_f64 v[7:8], v[11:12], v[3:4], v[7:8]
	v_fma_f64 v[5:6], v[3:4], v[13:14], -v[5:6]
	v_mov_b32_e32 v3, v10
	v_mad_u64_u32 v[10:11], null, s1, v214, v[3:4]
	v_mul_f64 v[3:4], v[7:8], s[2:3]
	v_mul_f64 v[5:6], v[5:6], s[2:3]
	v_lshlrev_b64 v[7:8], 4, v[9:10]
	v_add_co_u32 v7, vcc_lo, v0, v7
	v_add_co_ci_u32_e32 v8, vcc_lo, v1, v8, vcc_lo
	global_store_dwordx4 v[7:8], v[3:6], off
	global_load_dwordx4 v[3:6], v211, s[6:7] offset:96
	ds_read_b128 v[7:10], v2 offset:96
	ds_read_b128 v[11:14], v2 offset:128
	s_waitcnt vmcnt(0) lgkmcnt(1)
	v_mul_f64 v[15:16], v[9:10], v[5:6]
	v_mul_f64 v[5:6], v[7:8], v[5:6]
	v_fma_f64 v[7:8], v[7:8], v[3:4], v[15:16]
	v_fma_f64 v[5:6], v[3:4], v[9:10], -v[5:6]
	v_mad_u64_u32 v[9:10], null, s0, v213, 0
	v_mov_b32_e32 v3, v10
	v_mad_u64_u32 v[15:16], null, s1, v213, v[3:4]
	v_mul_f64 v[3:4], v[7:8], s[2:3]
	v_mul_f64 v[5:6], v[5:6], s[2:3]
	v_mov_b32_e32 v10, v15
	v_lshlrev_b64 v[7:8], 4, v[9:10]
	v_mad_u64_u32 v[9:10], null, s0, v210, 0
	v_add_co_u32 v7, vcc_lo, v0, v7
	v_add_co_ci_u32_e32 v8, vcc_lo, v1, v8, vcc_lo
	global_store_dwordx4 v[7:8], v[3:6], off
	global_load_dwordx4 v[3:6], v211, s[6:7] offset:128
	s_waitcnt vmcnt(0) lgkmcnt(0)
	v_mul_f64 v[7:8], v[13:14], v[5:6]
	v_mul_f64 v[5:6], v[11:12], v[5:6]
	v_fma_f64 v[7:8], v[11:12], v[3:4], v[7:8]
	v_fma_f64 v[5:6], v[3:4], v[13:14], -v[5:6]
	v_mov_b32_e32 v3, v10
	v_mad_u64_u32 v[10:11], null, s1, v210, v[3:4]
	v_mul_f64 v[3:4], v[7:8], s[2:3]
	v_mul_f64 v[5:6], v[5:6], s[2:3]
	v_lshlrev_b64 v[7:8], 4, v[9:10]
	v_add_co_u32 v7, vcc_lo, v0, v7
	v_add_co_ci_u32_e32 v8, vcc_lo, v1, v8, vcc_lo
	global_store_dwordx4 v[7:8], v[3:6], off
	global_load_dwordx4 v[3:6], v211, s[6:7] offset:160
	ds_read_b128 v[7:10], v2 offset:160
	ds_read_b128 v[11:14], v2 offset:192
	s_waitcnt vmcnt(0) lgkmcnt(1)
	v_mul_f64 v[15:16], v[9:10], v[5:6]
	v_mul_f64 v[5:6], v[7:8], v[5:6]
	v_fma_f64 v[7:8], v[7:8], v[3:4], v[15:16]
	v_fma_f64 v[5:6], v[3:4], v[9:10], -v[5:6]
	v_mad_u64_u32 v[9:10], null, s0, v209, 0
	v_mov_b32_e32 v3, v10
	v_mad_u64_u32 v[15:16], null, s1, v209, v[3:4]
	v_mul_f64 v[3:4], v[7:8], s[2:3]
	v_mul_f64 v[5:6], v[5:6], s[2:3]
	v_mov_b32_e32 v10, v15
	v_lshlrev_b64 v[7:8], 4, v[9:10]
	v_mad_u64_u32 v[9:10], null, s0, v208, 0
	v_add_co_u32 v7, vcc_lo, v0, v7
	v_add_co_ci_u32_e32 v8, vcc_lo, v1, v8, vcc_lo
	global_store_dwordx4 v[7:8], v[3:6], off
	global_load_dwordx4 v[3:6], v211, s[6:7] offset:192
	s_waitcnt vmcnt(0) lgkmcnt(0)
	v_mul_f64 v[7:8], v[13:14], v[5:6]
	v_mul_f64 v[5:6], v[11:12], v[5:6]
	v_fma_f64 v[7:8], v[11:12], v[3:4], v[7:8]
	v_fma_f64 v[5:6], v[3:4], v[13:14], -v[5:6]
	v_mov_b32_e32 v3, v10
	v_mad_u64_u32 v[10:11], null, s1, v208, v[3:4]
	v_mul_f64 v[3:4], v[7:8], s[2:3]
	v_mul_f64 v[5:6], v[5:6], s[2:3]
	v_lshlrev_b64 v[7:8], 4, v[9:10]
	v_add_co_u32 v7, vcc_lo, v0, v7
	v_add_co_ci_u32_e32 v8, vcc_lo, v1, v8, vcc_lo
	global_store_dwordx4 v[7:8], v[3:6], off
	global_load_dwordx4 v[3:6], v211, s[6:7] offset:224
	ds_read_b128 v[7:10], v2 offset:224
	ds_read_b128 v[11:14], v2 offset:256
	s_waitcnt vmcnt(0) lgkmcnt(1)
	v_mul_f64 v[15:16], v[9:10], v[5:6]
	v_mul_f64 v[5:6], v[7:8], v[5:6]
	v_fma_f64 v[7:8], v[7:8], v[3:4], v[15:16]
	v_fma_f64 v[5:6], v[3:4], v[9:10], -v[5:6]
	v_mad_u64_u32 v[9:10], null, s0, v207, 0
	v_mov_b32_e32 v3, v10
	v_mad_u64_u32 v[15:16], null, s1, v207, v[3:4]
	v_mul_f64 v[3:4], v[7:8], s[2:3]
	v_mul_f64 v[5:6], v[5:6], s[2:3]
	v_mov_b32_e32 v10, v15
	v_lshlrev_b64 v[7:8], 4, v[9:10]
	v_mad_u64_u32 v[9:10], null, s0, v206, 0
	v_add_co_u32 v7, vcc_lo, v0, v7
	v_add_co_ci_u32_e32 v8, vcc_lo, v1, v8, vcc_lo
	global_store_dwordx4 v[7:8], v[3:6], off
	global_load_dwordx4 v[3:6], v211, s[6:7] offset:256
	s_waitcnt vmcnt(0) lgkmcnt(0)
	v_mul_f64 v[7:8], v[13:14], v[5:6]
	v_mul_f64 v[5:6], v[11:12], v[5:6]
	v_fma_f64 v[7:8], v[11:12], v[3:4], v[7:8]
	v_fma_f64 v[5:6], v[3:4], v[13:14], -v[5:6]
	v_mov_b32_e32 v3, v10
	v_mad_u64_u32 v[10:11], null, s1, v206, v[3:4]
	v_mul_f64 v[3:4], v[7:8], s[2:3]
	v_mul_f64 v[5:6], v[5:6], s[2:3]
	v_lshlrev_b64 v[7:8], 4, v[9:10]
	v_add_co_u32 v7, vcc_lo, v0, v7
	v_add_co_ci_u32_e32 v8, vcc_lo, v1, v8, vcc_lo
	global_store_dwordx4 v[7:8], v[3:6], off
	global_load_dwordx4 v[3:6], v211, s[6:7] offset:288
	ds_read_b128 v[7:10], v2 offset:288
	ds_read_b128 v[11:14], v2 offset:320
	s_waitcnt vmcnt(0) lgkmcnt(1)
	v_mul_f64 v[15:16], v[9:10], v[5:6]
	v_mul_f64 v[5:6], v[7:8], v[5:6]
	v_fma_f64 v[7:8], v[7:8], v[3:4], v[15:16]
	v_fma_f64 v[5:6], v[3:4], v[9:10], -v[5:6]
	v_mad_u64_u32 v[9:10], null, s0, v205, 0
	v_mov_b32_e32 v3, v10
	v_mad_u64_u32 v[15:16], null, s1, v205, v[3:4]
	v_mul_f64 v[3:4], v[7:8], s[2:3]
	v_mul_f64 v[5:6], v[5:6], s[2:3]
	v_mov_b32_e32 v10, v15
	v_lshlrev_b64 v[7:8], 4, v[9:10]
	v_mad_u64_u32 v[9:10], null, s0, v204, 0
	v_add_co_u32 v7, vcc_lo, v0, v7
	v_add_co_ci_u32_e32 v8, vcc_lo, v1, v8, vcc_lo
	global_store_dwordx4 v[7:8], v[3:6], off
	global_load_dwordx4 v[3:6], v211, s[6:7] offset:320
	s_waitcnt vmcnt(0) lgkmcnt(0)
	v_mul_f64 v[7:8], v[13:14], v[5:6]
	v_mul_f64 v[5:6], v[11:12], v[5:6]
	v_fma_f64 v[7:8], v[11:12], v[3:4], v[7:8]
	v_fma_f64 v[5:6], v[3:4], v[13:14], -v[5:6]
	v_mov_b32_e32 v3, v10
	v_mad_u64_u32 v[10:11], null, s1, v204, v[3:4]
	v_mul_f64 v[3:4], v[7:8], s[2:3]
	v_mul_f64 v[5:6], v[5:6], s[2:3]
	v_lshlrev_b64 v[7:8], 4, v[9:10]
	v_add_co_u32 v7, vcc_lo, v0, v7
	v_add_co_ci_u32_e32 v8, vcc_lo, v1, v8, vcc_lo
	global_store_dwordx4 v[7:8], v[3:6], off
	global_load_dwordx4 v[3:6], v211, s[6:7] offset:352
	ds_read_b128 v[7:10], v2 offset:352
	ds_read_b128 v[11:14], v2 offset:384
	s_waitcnt vmcnt(0) lgkmcnt(1)
	v_mul_f64 v[15:16], v[9:10], v[5:6]
	v_mul_f64 v[5:6], v[7:8], v[5:6]
	v_fma_f64 v[7:8], v[7:8], v[3:4], v[15:16]
	v_fma_f64 v[5:6], v[3:4], v[9:10], -v[5:6]
	v_mad_u64_u32 v[9:10], null, s0, v203, 0
	v_mov_b32_e32 v3, v10
	v_mad_u64_u32 v[15:16], null, s1, v203, v[3:4]
	v_mul_f64 v[3:4], v[7:8], s[2:3]
	v_mul_f64 v[5:6], v[5:6], s[2:3]
	v_mov_b32_e32 v10, v15
	v_lshlrev_b64 v[7:8], 4, v[9:10]
	v_mad_u64_u32 v[9:10], null, s0, v242, 0
	v_add_co_u32 v7, vcc_lo, v0, v7
	v_add_co_ci_u32_e32 v8, vcc_lo, v1, v8, vcc_lo
	global_store_dwordx4 v[7:8], v[3:6], off
	global_load_dwordx4 v[3:6], v211, s[6:7] offset:384
	s_waitcnt vmcnt(0) lgkmcnt(0)
	v_mul_f64 v[7:8], v[13:14], v[5:6]
	v_mul_f64 v[5:6], v[11:12], v[5:6]
	v_fma_f64 v[7:8], v[11:12], v[3:4], v[7:8]
	v_fma_f64 v[5:6], v[3:4], v[13:14], -v[5:6]
	v_mov_b32_e32 v3, v10
	v_mad_u64_u32 v[10:11], null, s1, v242, v[3:4]
	v_mul_f64 v[3:4], v[7:8], s[2:3]
	v_mul_f64 v[5:6], v[5:6], s[2:3]
	v_lshlrev_b64 v[7:8], 4, v[9:10]
	v_add_co_u32 v7, vcc_lo, v0, v7
	v_add_co_ci_u32_e32 v8, vcc_lo, v1, v8, vcc_lo
	global_store_dwordx4 v[7:8], v[3:6], off
	global_load_dwordx4 v[3:6], v211, s[6:7] offset:416
	ds_read_b128 v[7:10], v2 offset:416
	ds_read_b128 v[11:14], v2 offset:448
	s_waitcnt vmcnt(0) lgkmcnt(1)
	v_mul_f64 v[15:16], v[9:10], v[5:6]
	v_mul_f64 v[5:6], v[7:8], v[5:6]
	v_fma_f64 v[7:8], v[7:8], v[3:4], v[15:16]
	v_fma_f64 v[5:6], v[3:4], v[9:10], -v[5:6]
	v_mad_u64_u32 v[9:10], null, s0, v241, 0
	v_mov_b32_e32 v3, v10
	v_mad_u64_u32 v[15:16], null, s1, v241, v[3:4]
	v_mul_f64 v[3:4], v[7:8], s[2:3]
	v_mul_f64 v[5:6], v[5:6], s[2:3]
	v_mov_b32_e32 v10, v15
	v_or_b32_e32 v15, 28, v255
	v_lshlrev_b64 v[7:8], 4, v[9:10]
	v_mad_u64_u32 v[9:10], null, s0, v15, 0
	v_add_co_u32 v7, vcc_lo, v0, v7
	v_add_co_ci_u32_e32 v8, vcc_lo, v1, v8, vcc_lo
	global_store_dwordx4 v[7:8], v[3:6], off
	global_load_dwordx4 v[3:6], v211, s[6:7] offset:448
	s_waitcnt vmcnt(0) lgkmcnt(0)
	v_mul_f64 v[7:8], v[13:14], v[5:6]
	v_mul_f64 v[5:6], v[11:12], v[5:6]
	v_fma_f64 v[7:8], v[11:12], v[3:4], v[7:8]
	v_fma_f64 v[5:6], v[3:4], v[13:14], -v[5:6]
	v_mov_b32_e32 v3, v10
	v_mad_u64_u32 v[10:11], null, s1, v15, v[3:4]
	v_mul_f64 v[3:4], v[7:8], s[2:3]
	v_mul_f64 v[5:6], v[5:6], s[2:3]
	v_lshlrev_b64 v[7:8], 4, v[9:10]
	v_add_co_u32 v7, vcc_lo, v0, v7
	v_add_co_ci_u32_e32 v8, vcc_lo, v1, v8, vcc_lo
	global_store_dwordx4 v[7:8], v[3:6], off
	global_load_dwordx4 v[3:6], v211, s[6:7] offset:480
	ds_read_b128 v[7:10], v2 offset:480
	ds_read_b128 v[11:14], v2 offset:512
	s_waitcnt vmcnt(0) lgkmcnt(1)
	v_mul_f64 v[15:16], v[9:10], v[5:6]
	v_mul_f64 v[5:6], v[7:8], v[5:6]
	v_fma_f64 v[7:8], v[7:8], v[3:4], v[15:16]
	v_fma_f64 v[4:5], v[3:4], v[9:10], -v[5:6]
	v_or_b32_e32 v3, 30, v255
	v_mad_u64_u32 v[9:10], null, s0, v3, 0
	v_mov_b32_e32 v2, v10
	v_mad_u64_u32 v[15:16], null, s1, v3, v[2:3]
	v_mul_f64 v[2:3], v[7:8], s[2:3]
	v_mul_f64 v[4:5], v[4:5], s[2:3]
	v_mov_b32_e32 v10, v15
	v_lshlrev_b64 v[6:7], 4, v[9:10]
	v_add_co_u32 v6, vcc_lo, v0, v6
	v_add_co_ci_u32_e32 v7, vcc_lo, v1, v7, vcc_lo
	global_store_dwordx4 v[6:7], v[2:5], off
	global_load_dwordx4 v[2:5], v211, s[6:7] offset:512
	s_waitcnt vmcnt(0) lgkmcnt(0)
	v_mul_f64 v[6:7], v[13:14], v[4:5]
	v_mul_f64 v[4:5], v[11:12], v[4:5]
	v_fma_f64 v[6:7], v[11:12], v[2:3], v[6:7]
	v_fma_f64 v[4:5], v[2:3], v[13:14], -v[4:5]
	v_or_b32_e32 v3, 32, v255
	v_mad_u64_u32 v[8:9], null, s0, v3, 0
	v_mov_b32_e32 v2, v9
	v_mad_u64_u32 v[9:10], null, s1, v3, v[2:3]
	v_mul_f64 v[2:3], v[6:7], s[2:3]
	v_mul_f64 v[4:5], v[4:5], s[2:3]
	v_lshlrev_b64 v[6:7], 4, v[8:9]
	v_add_co_u32 v0, vcc_lo, v0, v6
	v_add_co_ci_u32_e32 v1, vcc_lo, v1, v7, vcc_lo
	global_store_dwordx4 v[0:1], v[2:5], off
.LBB0_15:
	s_endpgm
	.section	.rodata,"a",@progbits
	.p2align	6, 0x0
	.amdhsa_kernel bluestein_single_fwd_len34_dim1_dp_op_CI_CI
		.amdhsa_group_segment_fixed_size 8160
		.amdhsa_private_segment_fixed_size 20
		.amdhsa_kernarg_size 104
		.amdhsa_user_sgpr_count 6
		.amdhsa_user_sgpr_private_segment_buffer 1
		.amdhsa_user_sgpr_dispatch_ptr 0
		.amdhsa_user_sgpr_queue_ptr 0
		.amdhsa_user_sgpr_kernarg_segment_ptr 1
		.amdhsa_user_sgpr_dispatch_id 0
		.amdhsa_user_sgpr_flat_scratch_init 0
		.amdhsa_user_sgpr_private_segment_size 0
		.amdhsa_wavefront_size32 1
		.amdhsa_uses_dynamic_stack 0
		.amdhsa_system_sgpr_private_segment_wavefront_offset 1
		.amdhsa_system_sgpr_workgroup_id_x 1
		.amdhsa_system_sgpr_workgroup_id_y 0
		.amdhsa_system_sgpr_workgroup_id_z 0
		.amdhsa_system_sgpr_workgroup_info 0
		.amdhsa_system_vgpr_workitem_id 0
		.amdhsa_next_free_vgpr 256
		.amdhsa_next_free_sgpr 64
		.amdhsa_reserve_vcc 1
		.amdhsa_reserve_flat_scratch 0
		.amdhsa_float_round_mode_32 0
		.amdhsa_float_round_mode_16_64 0
		.amdhsa_float_denorm_mode_32 3
		.amdhsa_float_denorm_mode_16_64 3
		.amdhsa_dx10_clamp 1
		.amdhsa_ieee_mode 1
		.amdhsa_fp16_overflow 0
		.amdhsa_workgroup_processor_mode 1
		.amdhsa_memory_ordered 1
		.amdhsa_forward_progress 0
		.amdhsa_shared_vgpr_count 0
		.amdhsa_exception_fp_ieee_invalid_op 0
		.amdhsa_exception_fp_denorm_src 0
		.amdhsa_exception_fp_ieee_div_zero 0
		.amdhsa_exception_fp_ieee_overflow 0
		.amdhsa_exception_fp_ieee_underflow 0
		.amdhsa_exception_fp_ieee_inexact 0
		.amdhsa_exception_int_div_zero 0
	.end_amdhsa_kernel
	.text
.Lfunc_end0:
	.size	bluestein_single_fwd_len34_dim1_dp_op_CI_CI, .Lfunc_end0-bluestein_single_fwd_len34_dim1_dp_op_CI_CI
                                        ; -- End function
	.section	.AMDGPU.csdata,"",@progbits
; Kernel info:
; codeLenInByte = 18984
; NumSgprs: 66
; NumVgprs: 256
; ScratchSize: 20
; MemoryBound: 0
; FloatMode: 240
; IeeeMode: 1
; LDSByteSize: 8160 bytes/workgroup (compile time only)
; SGPRBlocks: 8
; VGPRBlocks: 31
; NumSGPRsForWavesPerEU: 66
; NumVGPRsForWavesPerEU: 256
; Occupancy: 4
; WaveLimiterHint : 1
; COMPUTE_PGM_RSRC2:SCRATCH_EN: 1
; COMPUTE_PGM_RSRC2:USER_SGPR: 6
; COMPUTE_PGM_RSRC2:TRAP_HANDLER: 0
; COMPUTE_PGM_RSRC2:TGID_X_EN: 1
; COMPUTE_PGM_RSRC2:TGID_Y_EN: 0
; COMPUTE_PGM_RSRC2:TGID_Z_EN: 0
; COMPUTE_PGM_RSRC2:TIDIG_COMP_CNT: 0
	.text
	.p2alignl 6, 3214868480
	.fill 48, 4, 3214868480
	.type	__hip_cuid_c2419b2d07e4d715,@object ; @__hip_cuid_c2419b2d07e4d715
	.section	.bss,"aw",@nobits
	.globl	__hip_cuid_c2419b2d07e4d715
__hip_cuid_c2419b2d07e4d715:
	.byte	0                               ; 0x0
	.size	__hip_cuid_c2419b2d07e4d715, 1

	.ident	"AMD clang version 19.0.0git (https://github.com/RadeonOpenCompute/llvm-project roc-6.4.0 25133 c7fe45cf4b819c5991fe208aaa96edf142730f1d)"
	.section	".note.GNU-stack","",@progbits
	.addrsig
	.addrsig_sym __hip_cuid_c2419b2d07e4d715
	.amdgpu_metadata
---
amdhsa.kernels:
  - .args:
      - .actual_access:  read_only
        .address_space:  global
        .offset:         0
        .size:           8
        .value_kind:     global_buffer
      - .actual_access:  read_only
        .address_space:  global
        .offset:         8
        .size:           8
        .value_kind:     global_buffer
      - .actual_access:  read_only
        .address_space:  global
        .offset:         16
        .size:           8
        .value_kind:     global_buffer
      - .actual_access:  read_only
        .address_space:  global
        .offset:         24
        .size:           8
        .value_kind:     global_buffer
      - .actual_access:  read_only
        .address_space:  global
        .offset:         32
        .size:           8
        .value_kind:     global_buffer
      - .offset:         40
        .size:           8
        .value_kind:     by_value
      - .address_space:  global
        .offset:         48
        .size:           8
        .value_kind:     global_buffer
      - .address_space:  global
        .offset:         56
        .size:           8
        .value_kind:     global_buffer
      - .address_space:  global
        .offset:         64
        .size:           8
        .value_kind:     global_buffer
      - .address_space:  global
        .offset:         72
        .size:           8
        .value_kind:     global_buffer
      - .offset:         80
        .size:           4
        .value_kind:     by_value
      - .address_space:  global
        .offset:         88
        .size:           8
        .value_kind:     global_buffer
      - .address_space:  global
        .offset:         96
        .size:           8
        .value_kind:     global_buffer
    .group_segment_fixed_size: 8160
    .kernarg_segment_align: 8
    .kernarg_segment_size: 104
    .language:       OpenCL C
    .language_version:
      - 2
      - 0
    .max_flat_workgroup_size: 255
    .name:           bluestein_single_fwd_len34_dim1_dp_op_CI_CI
    .private_segment_fixed_size: 20
    .sgpr_count:     66
    .sgpr_spill_count: 0
    .symbol:         bluestein_single_fwd_len34_dim1_dp_op_CI_CI.kd
    .uniform_work_group_size: 1
    .uses_dynamic_stack: false
    .vgpr_count:     256
    .vgpr_spill_count: 4
    .wavefront_size: 32
    .workgroup_processor_mode: 1
amdhsa.target:   amdgcn-amd-amdhsa--gfx1030
amdhsa.version:
  - 1
  - 2
...

	.end_amdgpu_metadata
